;; amdgpu-corpus repo=ROCm/aiter kind=harvested arch=n/a opt=n/a

/root/src/amdgpu-assembly/repos/ROCm__aiter/hsa/gfx950/fmoe/silu/fmoe_fp16_pertokenFp8_g1u1_vs_silu_1tg_32x512.co:	file format elf64-amdgpu

Disassembly of section .text:

0000000000002e00 <_ZN5aiter45fmoe_fp16_pertokenFp8_g1u1_vs_silu_1tg_32x512E>:
	s_and_b32 s1, s1, 0xffff                                   // 000000002E00: 8601FF01 0000FFFF
	s_load_dwordx2 s[8:9], s[0:1], 0x0                         // 000000002E08: C0060200 00000000
	s_load_dwordx2 s[20:21], s[0:1], 0x10                      // 000000002E10: C0060500 00000010
	s_load_dwordx2 s[24:25], s[0:1], 0x20                      // 000000002E18: C0060600 00000020
	s_load_dwordx2 s[50:51], s[0:1], 0x30                      // 000000002E20: C0060C80 00000030
	s_load_dwordx2 s[12:13], s[0:1], 0x40                      // 000000002E28: C0060300 00000040
	s_load_dwordx2 s[28:29], s[0:1], 0x50                      // 000000002E30: C0060700 00000050
	s_load_dwordx2 s[32:33], s[0:1], 0x60                      // 000000002E38: C0060800 00000060
	s_load_dwordx2 s[16:17], s[0:1], 0x70                      // 000000002E40: C0060400 00000070
	s_load_dwordx2 s[36:37], s[0:1], 0x80                      // 000000002E48: C0060900 00000080
	s_load_dwordx2 s[44:45], s[0:1], 0x90                      // 000000002E50: C0060B00 00000090
	s_load_dwordx2 s[40:41], s[0:1], 0xa0                      // 000000002E58: C0060A00 000000A0
	s_load_dwordx2 s[46:47], s[0:1], 0xb0                      // 000000002E60: C0060B80 000000B0
	s_load_dword s64, s[0:1], 0xc0                             // 000000002E68: C0021000 000000C0
	s_load_dword s65, s[0:1], 0xd0                             // 000000002E70: C0021040 000000D0
	s_load_dword s66, s[0:1], 0xe0                             // 000000002E78: C0021080 000000E0
	s_load_dword s67, s[0:1], 0xf0                             // 000000002E80: C00210C0 000000F0
	s_load_dword s68, s[0:1], 0x100                            // 000000002E88: C0021100 00000100
	s_load_dword s69, s[0:1], 0x110                            // 000000002E90: C0021140 00000110
	s_load_dword s70, s[0:1], 0x120                            // 000000002E98: C0021180 00000120
	s_load_dword s71, s[0:1], 0x130                            // 000000002EA0: C00211C0 00000130
	s_load_dword s72, s[0:1], 0x140                            // 000000002EA8: C0021200 00000140
	s_load_dword s73, s[0:1], 0x150                            // 000000002EB0: C0021240 00000150
	s_load_dword s74, s[0:1], 0x160                            // 000000002EB8: C0021280 00000160
	s_load_dword s75, s[0:1], 0x170                            // 000000002EC0: C00212C0 00000170
	s_load_dword s76, s[0:1], 0x180                            // 000000002EC8: C0021300 00000180
	v_lshrrev_b32_e32 v1, 10, v0                               // 000000002ED0: 2002008A
	v_lshrrev_b32_e32 v2, 10, v1                               // 000000002ED4: 2004028A
	v_and_b32_e32 v2, 0x3ff, v2                                // 000000002ED8: 260404FF 000003FF
	v_and_b32_e32 v1, 0x3ff, v1                                // 000000002EE0: 260202FF 000003FF
	v_and_b32_e32 v0, 0x3ff, v0                                // 000000002EE8: 260000FF 000003FF
	v_lshrrev_b32_e32 v3, 6, v0                                // 000000002EF0: 20060086
	v_and_b32_e32 v0, 63, v0                                   // 000000002EF4: 260000BF
	s_mov_b32 s2, s2                                           // 000000002EF8: BE820002
	s_mov_b32 s3, s3                                           // 000000002EFC: BE830003
	s_mov_b32 s4, s4                                           // 000000002F00: BE840004
	v_readfirstlane_b32 s7, v3                                 // 000000002F04: 7E0E0503
	s_waitcnt lgkmcnt(0)                                       // 000000002F08: BF8CC07F
	s_and_b32 s51, s51, 0xffff                                 // 000000002F0C: 8633FF33 0000FFFF
	s_load_dword s50, s[50:51], 0x0                            // 000000002F14: C0020C99 00000000
	s_and_b32 s45, s45, 0xffff                                 // 000000002F1C: 862DFF2D 0000FFFF
	s_and_b32 s47, s47, 0xffff                                 // 000000002F24: 862FFF2F 0000FFFF
	s_and_b32 s9, s9, 0xffff                                   // 000000002F2C: 8609FF09 0000FFFF
	s_mul_i32 s60, s66, s68                                    // 000000002F34: 923C4442
	s_mul_i32 s61, s66, 4                                      // 000000002F38: 923D8442
	s_mov_b32 s22, s60                                         // 000000002F3C: BE96003C
	s_mov_b32 s26, -16                                         // 000000002F40: BE9A00D0
	s_mov_b32 s14, -16                                         // 000000002F44: BE8E00D0
	s_mov_b32 s42, -16                                         // 000000002F48: BEAA00D0
	s_mov_b32 s30, s61                                         // 000000002F4C: BE9E003D
	s_mov_b32 s34, 0x800                                       // 000000002F50: BEA200FF 00000800
	s_mov_b32 s38, 0x800                                       // 000000002F58: BEA600FF 00000800
	s_mov_b32 s18, -16                                         // 000000002F60: BE9200D0
	s_mov_b32 s23, 0x20000                                     // 000000002F64: BE9700FF 00020000
	s_mov_b32 s27, 0x20000                                     // 000000002F6C: BE9B00FF 00020000
	s_mov_b32 s15, 0x20000                                     // 000000002F74: BE8F00FF 00020000
	s_mov_b32 s43, 0x20000                                     // 000000002F7C: BEAB00FF 00020000
	s_mov_b32 s31, 0x20000                                     // 000000002F84: BE9F00FF 00020000
	s_mov_b32 s35, 0x20000                                     // 000000002F8C: BEA300FF 00020000
	s_mov_b32 s39, 0x20000                                     // 000000002F94: BEA700FF 00020000
	s_mov_b32 s19, 0x20000                                     // 000000002F9C: BE9300FF 00020000
	s_and_b32 s21, s21, 0xffff                                 // 000000002FA4: 8615FF15 0000FFFF
	s_and_b32 s25, s25, 0xffff                                 // 000000002FAC: 8619FF19 0000FFFF
	s_and_b32 s13, s13, 0xffff                                 // 000000002FB4: 860DFF0D 0000FFFF
	s_and_b32 s41, s41, 0xffff                                 // 000000002FBC: 8629FF29 0000FFFF
	s_and_b32 s29, s29, 0xffff                                 // 000000002FC4: 861DFF1D 0000FFFF
	s_and_b32 s33, s33, 0xffff                                 // 000000002FCC: 8621FF21 0000FFFF
	s_and_b32 s37, s37, 0xffff                                 // 000000002FD4: 8625FF25 0000FFFF
	s_and_b32 s17, s17, 0xffff                                 // 000000002FDC: 8611FF11 0000FFFF
	s_or_b32 s21, s21, 0x40000                                 // 000000002FE4: 8715FF15 00040000
	s_or_b32 s25, s25, 0x40000                                 // 000000002FEC: 8719FF19 00040000
	s_or_b32 s13, s13, 0x40000                                 // 000000002FF4: 870DFF0D 00040000
	s_or_b32 s41, s41, 0x40000                                 // 000000002FFC: 8729FF29 00040000
	s_or_b32 s29, s29, 0x40000                                 // 000000003004: 871DFF1D 00040000
	s_or_b32 s33, s33, 0x40000                                 // 00000000300C: 8721FF21 00040000
	s_or_b32 s37, s37, 0x40000                                 // 000000003014: 8725FF25 00040000
	s_or_b32 s17, s17, 0x40000                                 // 00000000301C: 8711FF11 00040000
	v_accvgpr_write_b32 a255, 0                                // 000000003024: D3D940FF 18000080
	v_mov_b32_e32 v255, 0                                      // 00000000302C: 7FFE0280
	s_waitcnt lgkmcnt(0)                                       // 000000003030: BF8CC07F
	s_mul_i32 s60, s3, 32                                      // 000000003034: 923CA003
	s_cmp_lt_i32 s60, s50                                      // 000000003038: BF04323C
	s_cbranch_scc0 label_24D8                                  // 00000000303C: BF842448
	s_mov_b32 s80, 0                                           // 000000003040: BED00080
	s_mov_b32 s81, s64                                         // 000000003044: BED10040
	s_mul_i32 s60, s3, 4                                       // 000000003048: 923C8403
	s_add_u32 s46, s60, s46                                    // 00000000304C: 802E2E3C
	s_addc_u32 s47, 0, s47                                     // 000000003050: 822F2F80
	s_load_dword s5, s[46:47], 0x0                             // 000000003054: C0020157 00000000
	s_mul_i32 s60, s3, 32                                      // 00000000305C: 923CA003
	s_mul_i32 s60, 4, s60                                      // 000000003060: 923C3C84
	v_and_b32_e32 v52, 15, v0                                  // 000000003064: 2668008F
	v_lshlrev_b32_e32 v52, 2, v52                              // 000000003068: 24686882
	v_add_u32_e32 v52, s60, v52                                // 00000000306C: 6868683C
	v_mov_b32_e32 v53, 0                                       // 000000003070: 7E6A0280
	global_load_dword v6, v52, s[44:45]                        // 000000003074: DC508000 062C0034
	v_add_u32_e32 v52, 64, v52                                 // 00000000307C: 686868C0
	global_load_dword v7, v52, s[44:45]                        // 000000003080: DC508000 072C0034
	s_mul_i32 s60, s3, 32                                      // 000000003088: 923CA003
	s_add_u32 s60, s7, s60                                     // 00000000308C: 803C3C07
	s_mul_i32 s60, 4, s60                                      // 000000003090: 923C3C84
	s_add_u32 s44, s60, s44                                    // 000000003094: 802C2C3C
	s_addc_u32 s45, 0, s45                                     // 000000003098: 822D2D80
	s_load_dword s82, s[44:45], 0x0                            // 00000000309C: C0021496 00000000
	s_load_dword s83, s[44:45], 0x10                           // 0000000030A4: C00214D6 00000010
	s_load_dword s84, s[44:45], 0x20                           // 0000000030AC: C0021516 00000020
	s_load_dword s85, s[44:45], 0x30                           // 0000000030B4: C0021556 00000030
	s_load_dword s86, s[44:45], 0x40                           // 0000000030BC: C0021596 00000040
	s_load_dword s87, s[44:45], 0x50                           // 0000000030C4: C00215D6 00000050
	s_load_dword s88, s[44:45], 0x60                           // 0000000030CC: C0021616 00000060
	s_load_dword s89, s[44:45], 0x70                           // 0000000030D4: C0021656 00000070
	s_waitcnt lgkmcnt(0)                                       // 0000000030DC: BF8CC07F
	v_lshlrev_b32_e32 v52, 2, v0                               // 0000000030E0: 24680082
	s_and_b32 s82, s82, 0xffffff                               // 0000000030E4: 8652FF52 00FFFFFF
	s_mul_i32 s60, s82, s68                                    // 0000000030EC: 923C4452
	v_add_u32_e64 v26, v52, s60                                // 0000000030F0: D134001A 00007934
	s_and_b32 s83, s83, 0xffffff                               // 0000000030F8: 8653FF53 00FFFFFF
	s_mul_i32 s60, s83, s68                                    // 000000003100: 923C4453
	v_add_u32_e64 v27, v52, s60                                // 000000003104: D134001B 00007934
	s_and_b32 s84, s84, 0xffffff                               // 00000000310C: 8654FF54 00FFFFFF
	s_mul_i32 s60, s84, s68                                    // 000000003114: 923C4454
	v_add_u32_e64 v28, v52, s60                                // 000000003118: D134001C 00007934
	s_and_b32 s85, s85, 0xffffff                               // 000000003120: 8655FF55 00FFFFFF
	s_mul_i32 s60, s85, s68                                    // 000000003128: 923C4455
	v_add_u32_e64 v29, v52, s60                                // 00000000312C: D134001D 00007934
	s_and_b32 s86, s86, 0xffffff                               // 000000003134: 8656FF56 00FFFFFF
	s_mul_i32 s60, s86, s68                                    // 00000000313C: 923C4456
	v_add_u32_e64 v30, v52, s60                                // 000000003140: D134001E 00007934
	s_and_b32 s87, s87, 0xffffff                               // 000000003148: 8657FF57 00FFFFFF
	s_mul_i32 s60, s87, s68                                    // 000000003150: 923C4457
	v_add_u32_e64 v31, v52, s60                                // 000000003154: D134001F 00007934
	s_and_b32 s88, s88, 0xffffff                               // 00000000315C: 8658FF58 00FFFFFF
	s_mul_i32 s60, s88, s68                                    // 000000003164: 923C4458
	v_add_u32_e64 v32, v52, s60                                // 000000003168: D1340020 00007934
	s_and_b32 s89, s89, 0xffffff                               // 000000003170: 8659FF59 00FFFFFF
	s_mul_i32 s60, s89, s68                                    // 000000003178: 923C4459
	v_add_u32_e64 v33, v52, s60                                // 00000000317C: D1340021 00007934
	v_lshlrev_b32_e32 v52, 2, v0                               // 000000003184: 24680082
	s_mul_i32 s60, s82, s71                                    // 000000003188: 923C4752
	v_add_u32_e64 v80, v52, s60                                // 00000000318C: D1340050 00007934
	v_mov_b32_e32 v81, 0                                       // 000000003194: 7EA20280
	s_mul_i32 s60, s83, s71                                    // 000000003198: 923C4753
	v_add_u32_e64 v82, v52, s60                                // 00000000319C: D1340052 00007934
	v_mov_b32_e32 v83, 0                                       // 0000000031A4: 7EA60280
	s_mul_i32 s60, s84, s71                                    // 0000000031A8: 923C4754
	v_add_u32_e64 v84, v52, s60                                // 0000000031AC: D1340054 00007934
	v_mov_b32_e32 v85, 0                                       // 0000000031B4: 7EAA0280
	s_mul_i32 s60, s85, s71                                    // 0000000031B8: 923C4755
	v_add_u32_e64 v86, v52, s60                                // 0000000031BC: D1340056 00007934
	v_mov_b32_e32 v87, 0                                       // 0000000031C4: 7EAE0280
	s_mul_i32 s60, s86, s71                                    // 0000000031C8: 923C4756
	v_add_u32_e64 v88, v52, s60                                // 0000000031CC: D1340058 00007934
	v_mov_b32_e32 v89, 0                                       // 0000000031D4: 7EB20280
	s_mul_i32 s60, s87, s71                                    // 0000000031D8: 923C4757
	v_add_u32_e64 v90, v52, s60                                // 0000000031DC: D134005A 00007934
	v_mov_b32_e32 v91, 0                                       // 0000000031E4: 7EB60280
	s_mul_i32 s60, s88, s71                                    // 0000000031E8: 923C4758
	v_add_u32_e64 v92, v52, s60                                // 0000000031EC: D134005C 00007934
	v_mov_b32_e32 v93, 0                                       // 0000000031F4: 7EBA0280
	s_mul_i32 s60, s89, s71                                    // 0000000031F8: 923C4759
	v_add_u32_e64 v94, v52, s60                                // 0000000031FC: D134005E 00007934
	v_mov_b32_e32 v95, 0                                       // 000000003204: 7EBE0280
	s_mul_i32 s60, s7, 0x820                                   // 000000003208: 923CFF07 00000820
	s_add_u32 s50, 0, s60                                      // 000000003210: 80323C80
	s_add_u32 s51, 0x2080, s50                                 // 000000003214: 803332FF 00002080
	v_lshrrev_b32_e32 v52, 4, v0                               // 00000000321C: 20680084
	v_lshlrev_b32_e32 v53, 2, v52                              // 000000003220: 246A6882
	v_and_b32_e32 v52, 15, v0                                  // 000000003224: 2668008F
	v_lshrrev_b32_e32 v54, 2, v52                              // 000000003228: 206C6882
	v_lshlrev_b32_e32 v54, 6, v54                              // 00000000322C: 246C6C86
	v_add_u32_e32 v53, v54, v53                                // 000000003230: 686A6B36
	v_and_b32_e32 v52, 3, v0                                   // 000000003234: 26680083
	v_mul_i32_i24_e32 v54, 0x208, v52                          // 000000003238: 0C6C68FF 00000208
	v_add_u32_e32 v53, v54, v53                                // 000000003240: 686A6B36
	v_lshlrev_b32_e32 v2, 2, v53                               // 000000003244: 24046A82
	s_mul_i32 s60, s2, 0x200                                   // 000000003248: 923CFF02 00000200
	s_mul_i32 s60, s60, s69                                    // 000000003250: 923C453C
	s_mul_i32 s61, s5, s72                                     // 000000003254: 923D4805
	s_add_u32 s60, s61, s60                                    // 000000003258: 803C3C3D
	s_add_u32 s24, s60, s24                                    // 00000000325C: 8018183C
	s_addc_u32 s25, 0, s25                                     // 000000003260: 82191980
	s_mul_i32 s60, s7, 16                                      // 000000003264: 923C9007
	s_mul_i32 s60, s60, s69                                    // 000000003268: 923C453C
	v_lshlrev_b32_e32 v34, 4, v0                               // 00000000326C: 24440084
	v_add_u32_e32 v34, s60, v34                                // 000000003270: 6844443C
	s_mul_i32 s60, 64, s69                                     // 000000003274: 923C45C0
	v_add_u32_e32 v35, s60, v34                                // 000000003278: 6846443C
	v_add_u32_e32 v36, s60, v35                                // 00000000327C: 6848463C
	v_add_u32_e32 v37, s60, v36                                // 000000003280: 684A483C
	v_add_u32_e32 v38, s60, v37                                // 000000003284: 684C4A3C
	v_add_u32_e32 v39, s60, v38                                // 000000003288: 684E4C3C
	v_add_u32_e32 v40, s60, v39                                // 00000000328C: 68504E3C
	v_add_u32_e32 v41, s60, v40                                // 000000003290: 6852503C
	s_mov_b32 s92, s24                                         // 000000003294: BEDC0018
	s_mov_b32 s93, s25                                         // 000000003298: BEDD0019
	s_mov_b32 s94, s26                                         // 00000000329C: BEDE001A
	s_mov_b32 s95, s27                                         // 0000000032A0: BEDF001B
	s_mul_i32 s60, s69, s65                                    // 0000000032A4: 923C4145
	s_add_u32 s92, s60, s92                                    // 0000000032A8: 805C5C3C
	s_addc_u32 s93, 0, s93                                     // 0000000032AC: 825D5D80
	s_mul_i32 s60, s2, 0x2000                                  // 0000000032B0: 923CFF02 00002000
	s_mul_i32 s61, s5, s73                                     // 0000000032B8: 923D4905
	s_add_u32 s60, s61, s60                                    // 0000000032BC: 803C3C3D
	s_add_u32 s12, s60, s12                                    // 0000000032C0: 800C0C3C
	s_addc_u32 s13, 0, s13                                     // 0000000032C4: 820D0D80
	s_mul_i32 s60, s7, 16                                      // 0000000032C8: 923C9007
	s_mul_i32 s60, s60, s70                                    // 0000000032CC: 923C463C
	v_lshlrev_b32_e32 v42, 4, v0                               // 0000000032D0: 24540084
	v_add_u32_e32 v42, s60, v42                                // 0000000032D4: 6854543C
	s_mul_i32 s60, 64, s70                                     // 0000000032D8: 923C46C0
	v_add_u32_e32 v43, s60, v42                                // 0000000032DC: 6856543C
	v_add_u32_e32 v44, s60, v43                                // 0000000032E0: 6858563C
	v_add_u32_e32 v45, s60, v44                                // 0000000032E4: 685A583C
	s_mul_i32 s60, s70, 0x100                                  // 0000000032E8: 923CFF46 00000100
	s_mov_b32 s78, 0x400                                       // 0000000032F0: BECE00FF 00000400
	s_mul_i32 s61, s78, 7                                      // 0000000032F8: 923D874E
	s_sub_u32 s56, s60, s61                                    // 0000000032FC: 80B83D3C
	s_mul_i32 s60, s3, 32                                      // 000000003300: 923CA003
	s_mul_i32 s60, 4, s60                                      // 000000003304: 923C3C84
	s_add_u32 s40, s60, s40                                    // 000000003308: 8028283C
	s_addc_u32 s41, 0, s41                                     // 00000000330C: 82292980
	v_and_b32_e32 v52, 15, v0                                  // 000000003310: 2668008F
	v_lshlrev_b32_e32 v8, 2, v52                               // 000000003314: 24106882
	v_add_u32_e32 v9, 64, v8                                   // 000000003318: 681210C0
	v_lshrrev_b32_e32 v52, 4, v0                               // 00000000331C: 20680084
	v_lshlrev_b32_e32 v53, 2, v52                              // 000000003320: 246A6882
	v_and_b32_e32 v52, 15, v0                                  // 000000003324: 2668008F
	v_lshrrev_b32_e32 v54, 2, v52                              // 000000003328: 206C6882
	v_lshlrev_b32_e32 v54, 6, v54                              // 00000000332C: 246C6C86
	v_add_u32_e32 v53, v54, v53                                // 000000003330: 686A6B36
	v_and_b32_e32 v52, 3, v0                                   // 000000003334: 26680083
	v_add_u32_e32 v53, v52, v53                                // 000000003338: 686A6B34
	v_lshlrev_b32_e32 v10, 2, v53                              // 00000000333C: 24146A82
	v_add_u32_e32 v11, 0x400, v10                              // 000000003340: 681614FF 00000400
	s_mul_i32 s60, s7, 16                                      // 000000003348: 923C9007
	s_mul_i32 s60, s60, 4                                      // 00000000334C: 923C843C
	v_add_u32_e32 v10, s60, v10                                // 000000003350: 6814143C
	v_add_u32_e32 v11, s60, v11                                // 000000003354: 6816163C
	v_mov_b32_e32 v5, v10                                      // 000000003358: 7E0A030A
	s_mul_i32 s60, s2, 0x200                                   // 00000000335C: 923CFF02 00000200
	s_mul_i32 s60, s60, 4                                      // 000000003364: 923C843C
	s_mul_i32 s61, s5, s74                                     // 000000003368: 923D4A05
	s_add_u32 s61, s61, s60                                    // 00000000336C: 803D3C3D
	s_mul_i32 s62, s5, s76                                     // 000000003370: 923E4C05
	s_add_u32 s62, s62, s60                                    // 000000003374: 803E3C3E
	s_add_u32 s32, s61, s32                                    // 000000003378: 8020203D
	s_addc_u32 s33, 0, s33                                     // 00000000337C: 82212180
	s_add_u32 s36, s62, s36                                    // 000000003380: 8024243E
	s_addc_u32 s37, 0, s37                                     // 000000003384: 82252580
	s_mul_i32 s60, s5, s75                                     // 000000003388: 923C4B05
	s_add_u32 s16, s60, s16                                    // 00000000338C: 8010103C
	s_addc_u32 s17, 0, s17                                     // 000000003390: 82111180
	s_mov_b32 s57, 0x100                                       // 000000003394: BEB900FF 00000100
	s_mov_b32 s58, 0x1000                                      // 00000000339C: BEBA00FF 00001000
	s_mov_b32 s79, 0x400                                       // 0000000033A4: BECF00FF 00000400
	s_mov_b32 s59, 0                                           // 0000000033AC: BEBB0080
	s_mov_b32 s90, s58                                         // 0000000033B0: BEDA003A
	s_mov_b32 s52, 0x7060302                                   // 0000000033B4: BEB400FF 07060302
	s_mov_b32 s53, 0x400                                       // 0000000033BC: BEB500FF 00000400
	s_mov_b32 s54, 0x40100                                     // 0000000033C4: BEB600FF 00040100
	s_mov_b32 s55, 0x4020100                                   // 0000000033CC: BEB700FF 04020100
	s_mov_b32 s6, 0x3fb8aa3b                                   // 0000000033D4: BE8600FF 3FB8AA3B
	s_mov_b32 s77, 0xbd92220c                                  // 0000000033DC: BECD00FF BD92220C
	s_mov_b32 m0, s50                                          // 0000000033E4: BEFC0032
	v_mov_b32_e32 v1, 0xbfcc4231                               // 0000000033E8: 7E0202FF BFCC4231
	v_mov_b32_e32 v47, 0xffff0000                              // 0000000033F0: 7E5E02FF FFFF0000
	v_mov_b32_e32 v48, 0x7fff0000                              // 0000000033F8: 7E6002FF 7FFF0000
	v_mov_b32_e32 v49, 0x7fff                                  // 000000003400: 7E6202FF 00007FFF
	s_waitcnt vmcnt(0) expcnt(0) lgkmcnt(0)                    // 000000003408: BF8C0000
	v_and_b32_e32 v6, 0xffffff, v6                             // 00000000340C: 260C0CFF 00FFFFFF
	v_and_b32_e32 v7, 0xffffff, v7                             // 000000003414: 260E0EFF 00FFFFFF
	v_lshlrev_b32_e32 v6, 2, v6                                // 00000000341C: 240C0C82
	v_lshlrev_b32_e32 v7, 2, v7                                // 000000003420: 240E0E82
	buffer_load_dword v14, v6, s[28:31], 0 offen               // 000000003424: E0501000 80070E06
	buffer_load_dword v15, v7, s[28:31], 0 offen               // 00000000342C: E0501000 80070F07
	buffer_load_dword v16, v10, s[32:35], 0 offen              // 000000003434: E0501000 8008100A
	buffer_load_dword v17, v11, s[32:35], 0 offen              // 00000000343C: E0501000 8008110B
	s_mul_i32 s60, 4, s65                                      // 000000003444: 923C4184
	s_add_u32 s32, s60, s32                                    // 000000003448: 8020203C
	s_addc_u32 s33, 0, s33                                     // 00000000344C: 82212180
	buffer_load_dword v50, v10, s[32:35], 0 offen              // 000000003450: E0501000 8008320A
	buffer_load_dword v51, v11, s[32:35], 0 offen              // 000000003458: E0501000 8008330B
	buffer_load_dword v20, v8, s[40:43], 0 offen               // 000000003460: E0501000 800A1408
	buffer_load_dword v21, v9, s[40:43], 0 offen               // 000000003468: E0501000 800A1509
	buffer_load_dword v26, s[20:23], 0 offen lds               // 000000003470: E0511000 8005001A
	s_add_u32 m0, 0x100, s50                                   // 000000003478: 807C32FF 00000100
	buffer_load_dword v27, s[20:23], 0 offen lds               // 000000003480: E0511000 8005001B
	s_add_u32 m0, 0x200, s50                                   // 000000003488: 807C32FF 00000200
	buffer_load_dword v28, s[20:23], 0 offen lds               // 000000003490: E0511000 8005001C
	s_add_u32 m0, 0x300, s50                                   // 000000003498: 807C32FF 00000300
	buffer_load_dword v29, s[20:23], 0 offen lds               // 0000000034A0: E0511000 8005001D
	s_add_u32 m0, 0x400, s50                                   // 0000000034A8: 807C32FF 00000400
	buffer_load_dword v30, s[20:23], 0 offen lds               // 0000000034B0: E0511000 8005001E
	s_add_u32 m0, 0x500, s50                                   // 0000000034B8: 807C32FF 00000500
	buffer_load_dword v31, s[20:23], 0 offen lds               // 0000000034C0: E0511000 8005001F
	s_add_u32 m0, 0x600, s50                                   // 0000000034C8: 807C32FF 00000600
	buffer_load_dword v32, s[20:23], 0 offen lds               // 0000000034D0: E0511000 80050020
	s_add_u32 m0, 0x700, s50                                   // 0000000034D8: 807C32FF 00000700
	buffer_load_dword v33, s[20:23], 0 offen lds               // 0000000034E0: E0511000 80050021
	s_add_u32 m0, 0, s51                                       // 0000000034E8: 807C3380
	s_add_u32 s20, s57, s20                                    // 0000000034EC: 80141439
	s_addc_u32 s21, 0, s21                                     // 0000000034F0: 82151580
	buffer_load_dwordx4 a[0:3], v34, s[24:27], 0 offen         // 0000000034F4: E05C1000 80860022
	buffer_load_dwordx4 a[4:7], v34, s[24:27], 0 offen offset:1024// 0000000034FC: E05C1400 80860422
	buffer_load_dwordx4 a[8:11], v34, s[24:27], 0 offen offset:2048// 000000003504: E05C1800 80860822
	buffer_load_dwordx4 a[12:15], v34, s[24:27], 0 offen offset:3072// 00000000350C: E05C1C00 80860C22
	buffer_load_dwordx4 a[16:19], v35, s[24:27], 0 offen       // 000000003514: E05C1000 80861023
	buffer_load_dwordx4 a[20:23], v35, s[24:27], 0 offen offset:1024// 00000000351C: E05C1400 80861423
	buffer_load_dwordx4 a[24:27], v35, s[24:27], 0 offen offset:2048// 000000003524: E05C1800 80861823
	buffer_load_dwordx4 a[28:31], v35, s[24:27], 0 offen offset:3072// 00000000352C: E05C1C00 80861C23
	buffer_load_dwordx4 a[32:35], v36, s[24:27], 0 offen       // 000000003534: E05C1000 80862024
	buffer_load_dwordx4 a[36:39], v36, s[24:27], 0 offen offset:1024// 00000000353C: E05C1400 80862424
	buffer_load_dwordx4 a[40:43], v36, s[24:27], 0 offen offset:2048// 000000003544: E05C1800 80862824
	buffer_load_dwordx4 a[44:47], v36, s[24:27], 0 offen offset:3072// 00000000354C: E05C1C00 80862C24
	buffer_load_dwordx4 a[48:51], v37, s[24:27], 0 offen       // 000000003554: E05C1000 80863025
	buffer_load_dwordx4 a[52:55], v37, s[24:27], 0 offen offset:1024// 00000000355C: E05C1400 80863425
	buffer_load_dwordx4 a[56:59], v37, s[24:27], 0 offen offset:2048// 000000003564: E05C1800 80863825
	buffer_load_dwordx4 a[60:63], v37, s[24:27], 0 offen offset:3072// 00000000356C: E05C1C00 80863C25
	buffer_load_dwordx4 a[64:67], v38, s[24:27], 0 offen       // 000000003574: E05C1000 80864026
	buffer_load_dwordx4 a[68:71], v38, s[24:27], 0 offen offset:1024// 00000000357C: E05C1400 80864426
	buffer_load_dwordx4 a[72:75], v38, s[24:27], 0 offen offset:2048// 000000003584: E05C1800 80864826
	buffer_load_dwordx4 a[76:79], v38, s[24:27], 0 offen offset:3072// 00000000358C: E05C1C00 80864C26
	buffer_load_dwordx4 a[80:83], v39, s[24:27], 0 offen       // 000000003594: E05C1000 80865027
	buffer_load_dwordx4 a[84:87], v39, s[24:27], 0 offen offset:1024// 00000000359C: E05C1400 80865427
	buffer_load_dwordx4 a[88:91], v39, s[24:27], 0 offen offset:2048// 0000000035A4: E05C1800 80865827
	buffer_load_dwordx4 a[92:95], v39, s[24:27], 0 offen offset:3072// 0000000035AC: E05C1C00 80865C27
	buffer_load_dwordx4 a[96:99], v40, s[24:27], 0 offen       // 0000000035B4: E05C1000 80866028
	buffer_load_dwordx4 a[100:103], v40, s[24:27], 0 offen offset:1024// 0000000035BC: E05C1400 80866428
	buffer_load_dwordx4 a[104:107], v40, s[24:27], 0 offen offset:2048// 0000000035C4: E05C1800 80866828
	buffer_load_dwordx4 a[108:111], v40, s[24:27], 0 offen offset:3072// 0000000035CC: E05C1C00 80866C28
	buffer_load_dwordx4 a[112:115], v41, s[24:27], 0 offen     // 0000000035D4: E05C1000 80867029
	buffer_load_dwordx4 a[116:119], v41, s[24:27], 0 offen offset:1024// 0000000035DC: E05C1400 80867429
	buffer_load_dwordx4 a[120:123], v41, s[24:27], 0 offen offset:2048// 0000000035E4: E05C1800 80867829
	buffer_load_dwordx4 a[124:127], v41, s[24:27], 0 offen offset:3072// 0000000035EC: E05C1C00 80867C29
	s_add_u32 s24, s58, s24                                    // 0000000035F4: 8018183A
	s_addc_u32 s25, 0, s25                                     // 0000000035F8: 82191980
	v_mov_b32_e32 v128, 0                                      // 0000000035FC: 7F000280
	v_mov_b32_e32 v64, 0                                       // 000000003600: 7E800280
	v_mov_b32_e32 v129, 0                                      // 000000003604: 7F020280
	v_mov_b32_e32 v65, 0                                       // 000000003608: 7E820280
	v_mov_b32_e32 v130, 0                                      // 00000000360C: 7F040280
	v_mov_b32_e32 v66, 0                                       // 000000003610: 7E840280
	v_mov_b32_e32 v131, 0                                      // 000000003614: 7F060280
	v_mov_b32_e32 v67, 0                                       // 000000003618: 7E860280
	v_mov_b32_e32 v132, 0                                      // 00000000361C: 7F080280
	v_mov_b32_e32 v68, 0                                       // 000000003620: 7E880280
	v_mov_b32_e32 v133, 0                                      // 000000003624: 7F0A0280
	v_mov_b32_e32 v69, 0                                       // 000000003628: 7E8A0280
	v_mov_b32_e32 v134, 0                                      // 00000000362C: 7F0C0280
	v_mov_b32_e32 v70, 0                                       // 000000003630: 7E8C0280
	v_mov_b32_e32 v135, 0                                      // 000000003634: 7F0E0280
	v_mov_b32_e32 v71, 0                                       // 000000003638: 7E8E0280
	v_mov_b32_e32 v136, 0                                      // 00000000363C: 7F100280
	v_mov_b32_e32 v72, 0                                       // 000000003640: 7E900280
	v_mov_b32_e32 v137, 0                                      // 000000003644: 7F120280
	v_mov_b32_e32 v73, 0                                       // 000000003648: 7E920280
	v_mov_b32_e32 v138, 0                                      // 00000000364C: 7F140280
	v_mov_b32_e32 v74, 0                                       // 000000003650: 7E940280
	v_mov_b32_e32 v139, 0                                      // 000000003654: 7F160280
	v_mov_b32_e32 v75, 0                                       // 000000003658: 7E960280
	v_mov_b32_e32 v140, 0                                      // 00000000365C: 7F180280
	v_mov_b32_e32 v76, 0                                       // 000000003660: 7E980280
	v_mov_b32_e32 v141, 0                                      // 000000003664: 7F1A0280
	v_mov_b32_e32 v77, 0                                       // 000000003668: 7E9A0280
	v_mov_b32_e32 v142, 0                                      // 00000000366C: 7F1C0280
	v_mov_b32_e32 v78, 0                                       // 000000003670: 7E9C0280
	v_mov_b32_e32 v143, 0                                      // 000000003674: 7F1E0280
	v_mov_b32_e32 v79, 0                                       // 000000003678: 7E9E0280
	v_mov_b32_e32 v144, 0                                      // 00000000367C: 7F200280
	v_mov_b32_e32 v80, 0                                       // 000000003680: 7EA00280
	v_mov_b32_e32 v145, 0                                      // 000000003684: 7F220280
	v_mov_b32_e32 v81, 0                                       // 000000003688: 7EA20280
	v_mov_b32_e32 v146, 0                                      // 00000000368C: 7F240280
	v_mov_b32_e32 v82, 0                                       // 000000003690: 7EA40280
	v_mov_b32_e32 v147, 0                                      // 000000003694: 7F260280
	v_mov_b32_e32 v83, 0                                       // 000000003698: 7EA60280
	v_mov_b32_e32 v148, 0                                      // 00000000369C: 7F280280
	v_mov_b32_e32 v84, 0                                       // 0000000036A0: 7EA80280
	v_mov_b32_e32 v149, 0                                      // 0000000036A4: 7F2A0280
	v_mov_b32_e32 v85, 0                                       // 0000000036A8: 7EAA0280
	v_mov_b32_e32 v150, 0                                      // 0000000036AC: 7F2C0280
	v_mov_b32_e32 v86, 0                                       // 0000000036B0: 7EAC0280
	v_mov_b32_e32 v151, 0                                      // 0000000036B4: 7F2E0280
	v_mov_b32_e32 v87, 0                                       // 0000000036B8: 7EAE0280
	v_mov_b32_e32 v152, 0                                      // 0000000036BC: 7F300280
	v_mov_b32_e32 v88, 0                                       // 0000000036C0: 7EB00280
	v_mov_b32_e32 v153, 0                                      // 0000000036C4: 7F320280
	v_mov_b32_e32 v89, 0                                       // 0000000036C8: 7EB20280
	v_mov_b32_e32 v154, 0                                      // 0000000036CC: 7F340280
	v_mov_b32_e32 v90, 0                                       // 0000000036D0: 7EB40280
	v_mov_b32_e32 v155, 0                                      // 0000000036D4: 7F360280
	v_mov_b32_e32 v91, 0                                       // 0000000036D8: 7EB60280
	v_mov_b32_e32 v156, 0                                      // 0000000036DC: 7F380280
	v_mov_b32_e32 v92, 0                                       // 0000000036E0: 7EB80280
	v_mov_b32_e32 v157, 0                                      // 0000000036E4: 7F3A0280
	v_mov_b32_e32 v93, 0                                       // 0000000036E8: 7EBA0280
	v_mov_b32_e32 v158, 0                                      // 0000000036EC: 7F3C0280
	v_mov_b32_e32 v94, 0                                       // 0000000036F0: 7EBC0280
	v_mov_b32_e32 v159, 0                                      // 0000000036F4: 7F3E0280
	v_mov_b32_e32 v95, 0                                       // 0000000036F8: 7EBE0280
	v_mov_b32_e32 v160, 0                                      // 0000000036FC: 7F400280
	v_mov_b32_e32 v96, 0                                       // 000000003700: 7EC00280
	v_mov_b32_e32 v161, 0                                      // 000000003704: 7F420280
	v_mov_b32_e32 v97, 0                                       // 000000003708: 7EC20280
	v_mov_b32_e32 v162, 0                                      // 00000000370C: 7F440280
	v_mov_b32_e32 v98, 0                                       // 000000003710: 7EC40280
	v_mov_b32_e32 v163, 0                                      // 000000003714: 7F460280
	v_mov_b32_e32 v99, 0                                       // 000000003718: 7EC60280
	v_mov_b32_e32 v164, 0                                      // 00000000371C: 7F480280
	v_mov_b32_e32 v100, 0                                      // 000000003720: 7EC80280
	v_mov_b32_e32 v165, 0                                      // 000000003724: 7F4A0280
	v_mov_b32_e32 v101, 0                                      // 000000003728: 7ECA0280
	v_mov_b32_e32 v166, 0                                      // 00000000372C: 7F4C0280
	v_mov_b32_e32 v102, 0                                      // 000000003730: 7ECC0280
	v_mov_b32_e32 v167, 0                                      // 000000003734: 7F4E0280
	v_mov_b32_e32 v103, 0                                      // 000000003738: 7ECE0280
	v_mov_b32_e32 v168, 0                                      // 00000000373C: 7F500280
	v_mov_b32_e32 v104, 0                                      // 000000003740: 7ED00280
	v_mov_b32_e32 v169, 0                                      // 000000003744: 7F520280
	v_mov_b32_e32 v105, 0                                      // 000000003748: 7ED20280
	v_mov_b32_e32 v170, 0                                      // 00000000374C: 7F540280
	v_mov_b32_e32 v106, 0                                      // 000000003750: 7ED40280
	v_mov_b32_e32 v171, 0                                      // 000000003754: 7F560280
	v_mov_b32_e32 v107, 0                                      // 000000003758: 7ED60280
	v_mov_b32_e32 v172, 0                                      // 00000000375C: 7F580280
	v_mov_b32_e32 v108, 0                                      // 000000003760: 7ED80280
	v_mov_b32_e32 v173, 0                                      // 000000003764: 7F5A0280
	v_mov_b32_e32 v109, 0                                      // 000000003768: 7EDA0280
	v_mov_b32_e32 v174, 0                                      // 00000000376C: 7F5C0280
	v_mov_b32_e32 v110, 0                                      // 000000003770: 7EDC0280
	v_mov_b32_e32 v175, 0                                      // 000000003774: 7F5E0280
	v_mov_b32_e32 v111, 0                                      // 000000003778: 7EDE0280
	v_mov_b32_e32 v176, 0                                      // 00000000377C: 7F600280
	v_mov_b32_e32 v112, 0                                      // 000000003780: 7EE00280
	v_mov_b32_e32 v177, 0                                      // 000000003784: 7F620280
	v_mov_b32_e32 v113, 0                                      // 000000003788: 7EE20280
	v_mov_b32_e32 v178, 0                                      // 00000000378C: 7F640280
	v_mov_b32_e32 v114, 0                                      // 000000003790: 7EE40280
	v_mov_b32_e32 v179, 0                                      // 000000003794: 7F660280
	v_mov_b32_e32 v115, 0                                      // 000000003798: 7EE60280
	v_mov_b32_e32 v180, 0                                      // 00000000379C: 7F680280
	v_mov_b32_e32 v116, 0                                      // 0000000037A0: 7EE80280
	v_mov_b32_e32 v181, 0                                      // 0000000037A4: 7F6A0280
	v_mov_b32_e32 v117, 0                                      // 0000000037A8: 7EEA0280
	v_mov_b32_e32 v182, 0                                      // 0000000037AC: 7F6C0280
	v_mov_b32_e32 v118, 0                                      // 0000000037B0: 7EEC0280
	v_mov_b32_e32 v183, 0                                      // 0000000037B4: 7F6E0280
	v_mov_b32_e32 v119, 0                                      // 0000000037B8: 7EEE0280
	v_mov_b32_e32 v184, 0                                      // 0000000037BC: 7F700280
	v_mov_b32_e32 v120, 0                                      // 0000000037C0: 7EF00280
	v_mov_b32_e32 v185, 0                                      // 0000000037C4: 7F720280
	v_mov_b32_e32 v121, 0                                      // 0000000037C8: 7EF20280
	v_mov_b32_e32 v186, 0                                      // 0000000037CC: 7F740280
	v_mov_b32_e32 v122, 0                                      // 0000000037D0: 7EF40280
	v_mov_b32_e32 v187, 0                                      // 0000000037D4: 7F760280
	v_mov_b32_e32 v123, 0                                      // 0000000037D8: 7EF60280
	v_mov_b32_e32 v188, 0                                      // 0000000037DC: 7F780280
	v_mov_b32_e32 v124, 0                                      // 0000000037E0: 7EF80280
	v_mov_b32_e32 v189, 0                                      // 0000000037E4: 7F7A0280
	v_mov_b32_e32 v125, 0                                      // 0000000037E8: 7EFA0280
	v_mov_b32_e32 v190, 0                                      // 0000000037EC: 7F7C0280
	v_mov_b32_e32 v126, 0                                      // 0000000037F0: 7EFC0280
	v_mov_b32_e32 v191, 0                                      // 0000000037F4: 7F7E0280
	v_mov_b32_e32 v127, 0                                      // 0000000037F8: 7EFE0280
	v_lshrrev_b32_e32 v52, 4, v0                               // 0000000037FC: 20680084
	v_mul_i32_i24_e32 v3, 34, v52                              // 000000003800: 0C0668A2
	v_and_b32_e32 v52, 15, v0                                  // 000000003804: 2668008F
	v_mul_i32_i24_e32 v53, 2, v52                              // 000000003808: 0C6A6882
	v_add_u32_e32 v3, v53, v3                                  // 00000000380C: 68060735
	s_mul_i32 s60, s7, 0x88                                    // 000000003810: 923CFF07 00000088
	v_add_u32_e32 v3, s60, v3                                  // 000000003818: 6806063C
	v_lshlrev_b32_e32 v3, 2, v3                                // 00000000381C: 24060682
	v_lshrrev_b32_e32 v52, 1, v0                               // 000000003820: 20680081
	v_mul_i32_i24_e32 v4, 34, v52                              // 000000003824: 0C0868A2
	v_and_b32_e32 v53, 1, v0                                   // 000000003828: 266A0081
	v_add_u32_e32 v4, v53, v4                                  // 00000000382C: 68080935
	s_mul_i32 s60, s7, 2                                       // 000000003830: 923C8207
	v_add_u32_e32 v4, s60, v4                                  // 000000003834: 6808083C
	v_lshlrev_b32_e32 v4, 2, v4                                // 000000003838: 24080882
	s_waitcnt vmcnt(32)                                        // 00000000383C: BF8C8F70
	s_barrier                                                  // 000000003840: BF8A0000
	ds_read_b128 v[192:195], v2                                // 000000003844: D9FE0000 C0000002
	ds_read_b128 v[196:199], v2 offset:64                      // 00000000384C: D9FE0040 C4000002
	ds_read_b128 v[200:203], v2 offset:128                     // 000000003854: D9FE0080 C8000002
	ds_read_b128 v[204:207], v2 offset:192                     // 00000000385C: D9FE00C0 CC000002
	ds_read_b128 v[208:211], v2 offset:1024                    // 000000003864: D9FE0400 D0000002
	ds_read_b128 v[212:215], v2 offset:1088                    // 00000000386C: D9FE0440 D4000002
	ds_read_b128 v[216:219], v2 offset:1152                    // 000000003874: D9FE0480 D8000002
	ds_read_b128 v[220:223], v2 offset:1216                    // 00000000387C: D9FE04C0 DC000002
	s_cmp_lt_i32 s7, 2                                         // 000000003884: BF048207
	s_cbranch_scc0 label_1316                                  // 000000003888: BF841073

000000000000388c <label_02A3>:
	s_waitcnt vmcnt(24) lgkmcnt(0)                             // 00000000388C: BF8C4078
	s_barrier                                                  // 000000003890: BF8A0000
	v_mfma_f32_16x16x32_fp8_fp8 v[128:131], a[0:1], v[192:193], v[128:131]// 000000003894: D3F30080 0E038100
	v_mfma_f32_16x16x32_fp8_fp8 v[128:131], a[2:3], v[194:195], v[128:131]// 00000000389C: D3F30080 0E038502
	buffer_load_dwordx4 a[128:131], v34, s[92:95], 0 offen     // 0000000038A4: E05C1000 80978022
	v_mfma_f32_16x16x32_fp8_fp8 v[128:131], a[4:5], v[196:197], v[128:131]// 0000000038AC: D3F30080 0E038904
	v_mfma_f32_16x16x32_fp8_fp8 v[128:131], a[6:7], v[198:199], v[128:131]// 0000000038B4: D3F30080 0E038D06
	buffer_load_dword v26, s[20:23], 0 offen lds               // 0000000038BC: E0511000 8005001A
	s_add_u32 m0, 0x100, s51                                   // 0000000038C4: 807C33FF 00000100
	v_mfma_f32_16x16x32_fp8_fp8 v[128:131], a[8:9], v[200:201], v[128:131]// 0000000038CC: D3F30080 0E039108
	v_mfma_f32_16x16x32_fp8_fp8 v[128:131], a[10:11], v[202:203], v[128:131]// 0000000038D4: D3F30080 0E03950A
	buffer_load_dwordx4 a[132:135], v34, s[92:95], 0 offen offset:1024// 0000000038DC: E05C1400 80978422
	v_mfma_f32_16x16x32_fp8_fp8 v[128:131], a[12:13], v[204:205], v[128:131]// 0000000038E4: D3F30080 0E03990C
	v_mfma_f32_16x16x32_fp8_fp8 v[128:131], a[14:15], v[206:207], v[128:131]// 0000000038EC: D3F30080 0E039D0E
	buffer_load_dword v27, s[20:23], 0 offen lds               // 0000000038F4: E0511000 8005001B
	s_add_u32 m0, 0x200, s51                                   // 0000000038FC: 807C33FF 00000200
	v_mfma_f32_16x16x32_fp8_fp8 v[132:135], a[0:1], v[208:209], v[132:135]// 000000003904: D3F30084 0E13A100
	v_mfma_f32_16x16x32_fp8_fp8 v[132:135], a[2:3], v[210:211], v[132:135]// 00000000390C: D3F30084 0E13A502
	buffer_load_dwordx4 a[136:139], v34, s[92:95], 0 offen offset:2048// 000000003914: E05C1800 80978822
	v_mfma_f32_16x16x32_fp8_fp8 v[132:135], a[4:5], v[212:213], v[132:135]// 00000000391C: D3F30084 0E13A904
	v_mfma_f32_16x16x32_fp8_fp8 v[132:135], a[6:7], v[214:215], v[132:135]// 000000003924: D3F30084 0E13AD06
	buffer_load_dword v28, s[20:23], 0 offen lds               // 00000000392C: E0511000 8005001C
	s_add_u32 m0, 0x300, s51                                   // 000000003934: 807C33FF 00000300
	v_mfma_f32_16x16x32_fp8_fp8 v[132:135], a[8:9], v[216:217], v[132:135]// 00000000393C: D3F30084 0E13B108
	v_mfma_f32_16x16x32_fp8_fp8 v[132:135], a[10:11], v[218:219], v[132:135]// 000000003944: D3F30084 0E13B50A
	buffer_load_dwordx4 a[140:143], v34, s[92:95], 0 offen offset:3072// 00000000394C: E05C1C00 80978C22
	v_mfma_f32_16x16x32_fp8_fp8 v[132:135], a[12:13], v[220:221], v[132:135]// 000000003954: D3F30084 0E13B90C
	v_mfma_f32_16x16x32_fp8_fp8 v[132:135], a[14:15], v[222:223], v[132:135]// 00000000395C: D3F30084 0E13BD0E
	buffer_load_dword v29, s[20:23], 0 offen lds               // 000000003964: E0511000 8005001D
	s_add_u32 m0, 0x400, s51                                   // 00000000396C: 807C33FF 00000400
	v_mfma_f32_16x16x32_fp8_fp8 v[136:139], a[16:17], v[192:193], v[136:139]// 000000003974: D3F30088 0E238110
	v_mfma_f32_16x16x32_fp8_fp8 v[136:139], a[18:19], v[194:195], v[136:139]// 00000000397C: D3F30088 0E238512
	buffer_load_dwordx4 a[144:147], v35, s[92:95], 0 offen     // 000000003984: E05C1000 80979023
	v_mfma_f32_16x16x32_fp8_fp8 v[136:139], a[20:21], v[196:197], v[136:139]// 00000000398C: D3F30088 0E238914
	v_mfma_f32_16x16x32_fp8_fp8 v[136:139], a[22:23], v[198:199], v[136:139]// 000000003994: D3F30088 0E238D16
	buffer_load_dword v30, s[20:23], 0 offen lds               // 00000000399C: E0511000 8005001E
	s_add_u32 m0, 0x500, s51                                   // 0000000039A4: 807C33FF 00000500
	v_mfma_f32_16x16x32_fp8_fp8 v[136:139], a[24:25], v[200:201], v[136:139]// 0000000039AC: D3F30088 0E239118
	v_mfma_f32_16x16x32_fp8_fp8 v[136:139], a[26:27], v[202:203], v[136:139]// 0000000039B4: D3F30088 0E23951A
	buffer_load_dwordx4 a[148:151], v35, s[92:95], 0 offen offset:1024// 0000000039BC: E05C1400 80979423
	v_mfma_f32_16x16x32_fp8_fp8 v[136:139], a[28:29], v[204:205], v[136:139]// 0000000039C4: D3F30088 0E23991C
	v_mfma_f32_16x16x32_fp8_fp8 v[136:139], a[30:31], v[206:207], v[136:139]// 0000000039CC: D3F30088 0E239D1E
	buffer_load_dword v31, s[20:23], 0 offen lds               // 0000000039D4: E0511000 8005001F
	s_add_u32 m0, 0x600, s51                                   // 0000000039DC: 807C33FF 00000600
	v_mfma_f32_16x16x32_fp8_fp8 v[140:143], a[16:17], v[208:209], v[140:143]// 0000000039E4: D3F3008C 0E33A110
	v_mfma_f32_16x16x32_fp8_fp8 v[140:143], a[18:19], v[210:211], v[140:143]// 0000000039EC: D3F3008C 0E33A512
	buffer_load_dwordx4 a[152:155], v35, s[92:95], 0 offen offset:2048// 0000000039F4: E05C1800 80979823
	v_mfma_f32_16x16x32_fp8_fp8 v[140:143], a[20:21], v[212:213], v[140:143]// 0000000039FC: D3F3008C 0E33A914
	v_mfma_f32_16x16x32_fp8_fp8 v[140:143], a[22:23], v[214:215], v[140:143]// 000000003A04: D3F3008C 0E33AD16
	buffer_load_dword v32, s[20:23], 0 offen lds               // 000000003A0C: E0511000 80050020
	s_add_u32 m0, 0x700, s51                                   // 000000003A14: 807C33FF 00000700
	v_mfma_f32_16x16x32_fp8_fp8 v[140:143], a[24:25], v[216:217], v[140:143]// 000000003A1C: D3F3008C 0E33B118
	v_mfma_f32_16x16x32_fp8_fp8 v[140:143], a[26:27], v[218:219], v[140:143]// 000000003A24: D3F3008C 0E33B51A
	buffer_load_dwordx4 a[156:159], v35, s[92:95], 0 offen offset:3072// 000000003A2C: E05C1C00 80979C23
	v_mfma_f32_16x16x32_fp8_fp8 v[140:143], a[28:29], v[220:221], v[140:143]// 000000003A34: D3F3008C 0E33B91C
	v_mfma_f32_16x16x32_fp8_fp8 v[140:143], a[30:31], v[222:223], v[140:143]// 000000003A3C: D3F3008C 0E33BD1E
	buffer_load_dword v33, s[20:23], 0 offen lds               // 000000003A44: E0511000 80050021
	s_add_u32 m0, 0, s50                                       // 000000003A4C: 807C3280
	s_waitcnt vmcnt(36)                                        // 000000003A50: BF8C8F74
	v_mfma_f32_16x16x32_fp8_fp8 v[144:147], a[32:33], v[192:193], v[144:147]// 000000003A54: D3F30090 0E438120
	v_mfma_f32_16x16x32_fp8_fp8 v[144:147], a[34:35], v[194:195], v[144:147]// 000000003A5C: D3F30090 0E438522
	buffer_load_dwordx4 a[160:163], v36, s[92:95], 0 offen     // 000000003A64: E05C1000 8097A024
	v_mfma_f32_16x16x32_fp8_fp8 v[144:147], a[36:37], v[196:197], v[144:147]// 000000003A6C: D3F30090 0E438924
	v_mfma_f32_16x16x32_fp8_fp8 v[144:147], a[38:39], v[198:199], v[144:147]// 000000003A74: D3F30090 0E438D26
	v_mfma_f32_16x16x32_fp8_fp8 v[144:147], a[40:41], v[200:201], v[144:147]// 000000003A7C: D3F30090 0E439128
	v_mfma_f32_16x16x32_fp8_fp8 v[144:147], a[42:43], v[202:203], v[144:147]// 000000003A84: D3F30090 0E43952A
	buffer_load_dwordx4 a[164:167], v36, s[92:95], 0 offen offset:1024// 000000003A8C: E05C1400 8097A424
	v_mfma_f32_16x16x32_fp8_fp8 v[144:147], a[44:45], v[204:205], v[144:147]// 000000003A94: D3F30090 0E43992C
	v_mfma_f32_16x16x32_fp8_fp8 v[144:147], a[46:47], v[206:207], v[144:147]// 000000003A9C: D3F30090 0E439D2E
	v_mfma_f32_16x16x32_fp8_fp8 v[148:151], a[32:33], v[208:209], v[148:151]// 000000003AA4: D3F30094 0E53A120
	v_mfma_f32_16x16x32_fp8_fp8 v[148:151], a[34:35], v[210:211], v[148:151]// 000000003AAC: D3F30094 0E53A522
	buffer_load_dwordx4 a[168:171], v36, s[92:95], 0 offen offset:2048// 000000003AB4: E05C1800 8097A824
	v_mfma_f32_16x16x32_fp8_fp8 v[148:151], a[36:37], v[212:213], v[148:151]// 000000003ABC: D3F30094 0E53A924
	v_mfma_f32_16x16x32_fp8_fp8 v[148:151], a[38:39], v[214:215], v[148:151]// 000000003AC4: D3F30094 0E53AD26
	v_mfma_f32_16x16x32_fp8_fp8 v[148:151], a[40:41], v[216:217], v[148:151]// 000000003ACC: D3F30094 0E53B128
	v_mfma_f32_16x16x32_fp8_fp8 v[148:151], a[42:43], v[218:219], v[148:151]// 000000003AD4: D3F30094 0E53B52A
	buffer_load_dwordx4 a[172:175], v36, s[92:95], 0 offen offset:3072// 000000003ADC: E05C1C00 8097AC24
	v_mfma_f32_16x16x32_fp8_fp8 v[148:151], a[44:45], v[220:221], v[148:151]// 000000003AE4: D3F30094 0E53B92C
	v_mfma_f32_16x16x32_fp8_fp8 v[148:151], a[46:47], v[222:223], v[148:151]// 000000003AEC: D3F30094 0E53BD2E
	s_waitcnt vmcnt(36)                                        // 000000003AF4: BF8C8F74
	v_mfma_f32_16x16x32_fp8_fp8 v[152:155], a[48:49], v[192:193], v[152:155]// 000000003AF8: D3F30098 0E638130
	v_mfma_f32_16x16x32_fp8_fp8 v[152:155], a[50:51], v[194:195], v[152:155]// 000000003B00: D3F30098 0E638532
	buffer_load_dwordx4 a[176:179], v37, s[92:95], 0 offen     // 000000003B08: E05C1000 8097B025
	v_mfma_f32_16x16x32_fp8_fp8 v[152:155], a[52:53], v[196:197], v[152:155]// 000000003B10: D3F30098 0E638934
	v_mfma_f32_16x16x32_fp8_fp8 v[152:155], a[54:55], v[198:199], v[152:155]// 000000003B18: D3F30098 0E638D36
	v_mfma_f32_16x16x32_fp8_fp8 v[152:155], a[56:57], v[200:201], v[152:155]// 000000003B20: D3F30098 0E639138
	v_mfma_f32_16x16x32_fp8_fp8 v[152:155], a[58:59], v[202:203], v[152:155]// 000000003B28: D3F30098 0E63953A
	buffer_load_dwordx4 a[180:183], v37, s[92:95], 0 offen offset:1024// 000000003B30: E05C1400 8097B425
	v_mfma_f32_16x16x32_fp8_fp8 v[152:155], a[60:61], v[204:205], v[152:155]// 000000003B38: D3F30098 0E63993C
	v_mfma_f32_16x16x32_fp8_fp8 v[152:155], a[62:63], v[206:207], v[152:155]// 000000003B40: D3F30098 0E639D3E
	v_mfma_f32_16x16x32_fp8_fp8 v[156:159], a[48:49], v[208:209], v[156:159]// 000000003B48: D3F3009C 0E73A130
	v_mfma_f32_16x16x32_fp8_fp8 v[156:159], a[50:51], v[210:211], v[156:159]// 000000003B50: D3F3009C 0E73A532
	buffer_load_dwordx4 a[184:187], v37, s[92:95], 0 offen offset:2048// 000000003B58: E05C1800 8097B825
	v_mfma_f32_16x16x32_fp8_fp8 v[156:159], a[52:53], v[212:213], v[156:159]// 000000003B60: D3F3009C 0E73A934
	v_mfma_f32_16x16x32_fp8_fp8 v[156:159], a[54:55], v[214:215], v[156:159]// 000000003B68: D3F3009C 0E73AD36
	v_mfma_f32_16x16x32_fp8_fp8 v[156:159], a[56:57], v[216:217], v[156:159]// 000000003B70: D3F3009C 0E73B138
	v_mfma_f32_16x16x32_fp8_fp8 v[156:159], a[58:59], v[218:219], v[156:159]// 000000003B78: D3F3009C 0E73B53A
	buffer_load_dwordx4 a[188:191], v37, s[92:95], 0 offen offset:3072// 000000003B80: E05C1C00 8097BC25
	v_mfma_f32_16x16x32_fp8_fp8 v[156:159], a[60:61], v[220:221], v[156:159]// 000000003B88: D3F3009C 0E73B93C
	v_mfma_f32_16x16x32_fp8_fp8 v[156:159], a[62:63], v[222:223], v[156:159]// 000000003B90: D3F3009C 0E73BD3E
	s_waitcnt vmcnt(36)                                        // 000000003B98: BF8C8F74
	v_mfma_f32_16x16x32_fp8_fp8 v[160:163], a[64:65], v[192:193], v[160:163]// 000000003B9C: D3F300A0 0E838140
	v_mfma_f32_16x16x32_fp8_fp8 v[160:163], a[66:67], v[194:195], v[160:163]// 000000003BA4: D3F300A0 0E838542
	buffer_load_dwordx4 a[192:195], v38, s[92:95], 0 offen     // 000000003BAC: E05C1000 8097C026
	v_mfma_f32_16x16x32_fp8_fp8 v[160:163], a[68:69], v[196:197], v[160:163]// 000000003BB4: D3F300A0 0E838944
	v_mfma_f32_16x16x32_fp8_fp8 v[160:163], a[70:71], v[198:199], v[160:163]// 000000003BBC: D3F300A0 0E838D46
	v_mfma_f32_16x16x32_fp8_fp8 v[160:163], a[72:73], v[200:201], v[160:163]// 000000003BC4: D3F300A0 0E839148
	v_mfma_f32_16x16x32_fp8_fp8 v[160:163], a[74:75], v[202:203], v[160:163]// 000000003BCC: D3F300A0 0E83954A
	buffer_load_dwordx4 a[196:199], v38, s[92:95], 0 offen offset:1024// 000000003BD4: E05C1400 8097C426
	v_mfma_f32_16x16x32_fp8_fp8 v[160:163], a[76:77], v[204:205], v[160:163]// 000000003BDC: D3F300A0 0E83994C
	v_mfma_f32_16x16x32_fp8_fp8 v[160:163], a[78:79], v[206:207], v[160:163]// 000000003BE4: D3F300A0 0E839D4E
	v_mfma_f32_16x16x32_fp8_fp8 v[164:167], a[64:65], v[208:209], v[164:167]// 000000003BEC: D3F300A4 0E93A140
	v_mfma_f32_16x16x32_fp8_fp8 v[164:167], a[66:67], v[210:211], v[164:167]// 000000003BF4: D3F300A4 0E93A542
	buffer_load_dwordx4 a[200:203], v38, s[92:95], 0 offen offset:2048// 000000003BFC: E05C1800 8097C826
	v_mfma_f32_16x16x32_fp8_fp8 v[164:167], a[68:69], v[212:213], v[164:167]// 000000003C04: D3F300A4 0E93A944
	v_mfma_f32_16x16x32_fp8_fp8 v[164:167], a[70:71], v[214:215], v[164:167]// 000000003C0C: D3F300A4 0E93AD46
	v_mfma_f32_16x16x32_fp8_fp8 v[164:167], a[72:73], v[216:217], v[164:167]// 000000003C14: D3F300A4 0E93B148
	v_mfma_f32_16x16x32_fp8_fp8 v[164:167], a[74:75], v[218:219], v[164:167]// 000000003C1C: D3F300A4 0E93B54A
	buffer_load_dwordx4 a[204:207], v38, s[92:95], 0 offen offset:3072// 000000003C24: E05C1C00 8097CC26
	v_mfma_f32_16x16x32_fp8_fp8 v[164:167], a[76:77], v[220:221], v[164:167]// 000000003C2C: D3F300A4 0E93B94C
	v_mfma_f32_16x16x32_fp8_fp8 v[164:167], a[78:79], v[222:223], v[164:167]// 000000003C34: D3F300A4 0E93BD4E
	s_waitcnt vmcnt(36)                                        // 000000003C3C: BF8C8F74
	v_mfma_f32_16x16x32_fp8_fp8 v[168:171], a[80:81], v[192:193], v[168:171]// 000000003C40: D3F300A8 0EA38150
	v_mfma_f32_16x16x32_fp8_fp8 v[168:171], a[82:83], v[194:195], v[168:171]// 000000003C48: D3F300A8 0EA38552
	buffer_load_dwordx4 a[208:211], v39, s[92:95], 0 offen     // 000000003C50: E05C1000 8097D027
	v_mfma_f32_16x16x32_fp8_fp8 v[168:171], a[84:85], v[196:197], v[168:171]// 000000003C58: D3F300A8 0EA38954
	v_mfma_f32_16x16x32_fp8_fp8 v[168:171], a[86:87], v[198:199], v[168:171]// 000000003C60: D3F300A8 0EA38D56
	v_mfma_f32_16x16x32_fp8_fp8 v[168:171], a[88:89], v[200:201], v[168:171]// 000000003C68: D3F300A8 0EA39158
	v_mfma_f32_16x16x32_fp8_fp8 v[168:171], a[90:91], v[202:203], v[168:171]// 000000003C70: D3F300A8 0EA3955A
	buffer_load_dwordx4 a[212:215], v39, s[92:95], 0 offen offset:1024// 000000003C78: E05C1400 8097D427
	v_mfma_f32_16x16x32_fp8_fp8 v[168:171], a[92:93], v[204:205], v[168:171]// 000000003C80: D3F300A8 0EA3995C
	v_mfma_f32_16x16x32_fp8_fp8 v[168:171], a[94:95], v[206:207], v[168:171]// 000000003C88: D3F300A8 0EA39D5E
	v_mfma_f32_16x16x32_fp8_fp8 v[172:175], a[80:81], v[208:209], v[172:175]// 000000003C90: D3F300AC 0EB3A150
	v_mfma_f32_16x16x32_fp8_fp8 v[172:175], a[82:83], v[210:211], v[172:175]// 000000003C98: D3F300AC 0EB3A552
	buffer_load_dwordx4 a[216:219], v39, s[92:95], 0 offen offset:2048// 000000003CA0: E05C1800 8097D827
	v_mfma_f32_16x16x32_fp8_fp8 v[172:175], a[84:85], v[212:213], v[172:175]// 000000003CA8: D3F300AC 0EB3A954
	v_mfma_f32_16x16x32_fp8_fp8 v[172:175], a[86:87], v[214:215], v[172:175]// 000000003CB0: D3F300AC 0EB3AD56
	v_mfma_f32_16x16x32_fp8_fp8 v[172:175], a[88:89], v[216:217], v[172:175]// 000000003CB8: D3F300AC 0EB3B158
	v_mfma_f32_16x16x32_fp8_fp8 v[172:175], a[90:91], v[218:219], v[172:175]// 000000003CC0: D3F300AC 0EB3B55A
	buffer_load_dwordx4 a[220:223], v39, s[92:95], 0 offen offset:3072// 000000003CC8: E05C1C00 8097DC27
	v_mfma_f32_16x16x32_fp8_fp8 v[172:175], a[92:93], v[220:221], v[172:175]// 000000003CD0: D3F300AC 0EB3B95C
	v_mfma_f32_16x16x32_fp8_fp8 v[172:175], a[94:95], v[222:223], v[172:175]// 000000003CD8: D3F300AC 0EB3BD5E
	s_waitcnt vmcnt(36)                                        // 000000003CE0: BF8C8F74
	v_mfma_f32_16x16x32_fp8_fp8 v[176:179], a[96:97], v[192:193], v[176:179]// 000000003CE4: D3F300B0 0EC38160
	v_mfma_f32_16x16x32_fp8_fp8 v[176:179], a[98:99], v[194:195], v[176:179]// 000000003CEC: D3F300B0 0EC38562
	buffer_load_dwordx4 a[224:227], v40, s[92:95], 0 offen     // 000000003CF4: E05C1000 8097E028
	v_mfma_f32_16x16x32_fp8_fp8 v[176:179], a[100:101], v[196:197], v[176:179]// 000000003CFC: D3F300B0 0EC38964
	v_mfma_f32_16x16x32_fp8_fp8 v[176:179], a[102:103], v[198:199], v[176:179]// 000000003D04: D3F300B0 0EC38D66
	v_mfma_f32_16x16x32_fp8_fp8 v[176:179], a[104:105], v[200:201], v[176:179]// 000000003D0C: D3F300B0 0EC39168
	v_mfma_f32_16x16x32_fp8_fp8 v[176:179], a[106:107], v[202:203], v[176:179]// 000000003D14: D3F300B0 0EC3956A
	buffer_load_dwordx4 a[228:231], v40, s[92:95], 0 offen offset:1024// 000000003D1C: E05C1400 8097E428
	v_mfma_f32_16x16x32_fp8_fp8 v[176:179], a[108:109], v[204:205], v[176:179]// 000000003D24: D3F300B0 0EC3996C
	v_mfma_f32_16x16x32_fp8_fp8 v[176:179], a[110:111], v[206:207], v[176:179]// 000000003D2C: D3F300B0 0EC39D6E
	v_mfma_f32_16x16x32_fp8_fp8 v[180:183], a[96:97], v[208:209], v[180:183]// 000000003D34: D3F300B4 0ED3A160
	v_mfma_f32_16x16x32_fp8_fp8 v[180:183], a[98:99], v[210:211], v[180:183]// 000000003D3C: D3F300B4 0ED3A562
	buffer_load_dwordx4 a[232:235], v40, s[92:95], 0 offen offset:2048// 000000003D44: E05C1800 8097E828
	v_mfma_f32_16x16x32_fp8_fp8 v[180:183], a[100:101], v[212:213], v[180:183]// 000000003D4C: D3F300B4 0ED3A964
	v_mfma_f32_16x16x32_fp8_fp8 v[180:183], a[102:103], v[214:215], v[180:183]// 000000003D54: D3F300B4 0ED3AD66
	v_mfma_f32_16x16x32_fp8_fp8 v[180:183], a[104:105], v[216:217], v[180:183]// 000000003D5C: D3F300B4 0ED3B168
	v_mfma_f32_16x16x32_fp8_fp8 v[180:183], a[106:107], v[218:219], v[180:183]// 000000003D64: D3F300B4 0ED3B56A
	buffer_load_dwordx4 a[236:239], v40, s[92:95], 0 offen offset:3072// 000000003D6C: E05C1C00 8097EC28
	v_mfma_f32_16x16x32_fp8_fp8 v[180:183], a[108:109], v[220:221], v[180:183]// 000000003D74: D3F300B4 0ED3B96C
	v_mfma_f32_16x16x32_fp8_fp8 v[180:183], a[110:111], v[222:223], v[180:183]// 000000003D7C: D3F300B4 0ED3BD6E
	s_waitcnt vmcnt(36)                                        // 000000003D84: BF8C8F74
	v_mfma_f32_16x16x32_fp8_fp8 v[184:187], a[112:113], v[192:193], v[184:187]// 000000003D88: D3F300B8 0EE38170
	v_mfma_f32_16x16x32_fp8_fp8 v[184:187], a[114:115], v[194:195], v[184:187]// 000000003D90: D3F300B8 0EE38572
	buffer_load_dwordx4 a[240:243], v41, s[92:95], 0 offen     // 000000003D98: E05C1000 8097F029
	v_mfma_f32_16x16x32_fp8_fp8 v[184:187], a[116:117], v[196:197], v[184:187]// 000000003DA0: D3F300B8 0EE38974
	v_mfma_f32_16x16x32_fp8_fp8 v[184:187], a[118:119], v[198:199], v[184:187]// 000000003DA8: D3F300B8 0EE38D76
	v_mfma_f32_16x16x32_fp8_fp8 v[184:187], a[120:121], v[200:201], v[184:187]// 000000003DB0: D3F300B8 0EE39178
	v_mfma_f32_16x16x32_fp8_fp8 v[184:187], a[122:123], v[202:203], v[184:187]// 000000003DB8: D3F300B8 0EE3957A
	buffer_load_dwordx4 a[244:247], v41, s[92:95], 0 offen offset:1024// 000000003DC0: E05C1400 8097F429
	v_mfma_f32_16x16x32_fp8_fp8 v[184:187], a[124:125], v[204:205], v[184:187]// 000000003DC8: D3F300B8 0EE3997C
	v_mfma_f32_16x16x32_fp8_fp8 v[184:187], a[126:127], v[206:207], v[184:187]// 000000003DD0: D3F300B8 0EE39D7E
	v_mfma_f32_16x16x32_fp8_fp8 v[188:191], a[112:113], v[208:209], v[188:191]// 000000003DD8: D3F300BC 0EF3A170
	v_mfma_f32_16x16x32_fp8_fp8 v[188:191], a[114:115], v[210:211], v[188:191]// 000000003DE0: D3F300BC 0EF3A572
	buffer_load_dwordx4 a[248:251], v41, s[92:95], 0 offen offset:2048// 000000003DE8: E05C1800 8097F829
	v_mfma_f32_16x16x32_fp8_fp8 v[188:191], a[116:117], v[212:213], v[188:191]// 000000003DF0: D3F300BC 0EF3A974
	v_mfma_f32_16x16x32_fp8_fp8 v[188:191], a[118:119], v[214:215], v[188:191]// 000000003DF8: D3F300BC 0EF3AD76
	v_mfma_f32_16x16x32_fp8_fp8 v[188:191], a[120:121], v[216:217], v[188:191]// 000000003E00: D3F300BC 0EF3B178
	v_mfma_f32_16x16x32_fp8_fp8 v[188:191], a[122:123], v[218:219], v[188:191]// 000000003E08: D3F300BC 0EF3B57A
	buffer_load_dwordx4 a[252:255], v41, s[92:95], 0 offen offset:3072// 000000003E10: E05C1C00 8097FC29
	v_mfma_f32_16x16x32_fp8_fp8 v[188:191], a[124:125], v[220:221], v[188:191]// 000000003E18: D3F300BC 0EF3B97C
	v_mfma_f32_16x16x32_fp8_fp8 v[188:191], a[126:127], v[222:223], v[188:191]// 000000003E20: D3F300BC 0EF3BD7E
	s_waitcnt vmcnt(24)                                        // 000000003E28: BF8C4F78
	s_barrier                                                  // 000000003E2C: BF8A0000
	v_mfma_f32_16x16x32_fp8_fp8 v[64:67], a[128:129], v[192:193], v[64:67]// 000000003E30: D3F30040 0D038180
	v_mfma_f32_16x16x32_fp8_fp8 v[64:67], a[130:131], v[194:195], v[64:67]// 000000003E38: D3F30040 0D038582
	buffer_load_dwordx4 a[0:3], v34, s[24:27], 0 offen         // 000000003E40: E05C1000 80860022
	v_mfma_f32_16x16x32_fp8_fp8 v[64:67], a[132:133], v[196:197], v[64:67]// 000000003E48: D3F30040 0D038984
	v_mfma_f32_16x16x32_fp8_fp8 v[64:67], a[134:135], v[198:199], v[64:67]// 000000003E50: D3F30040 0D038D86
	v_mfma_f32_16x16x32_fp8_fp8 v[64:67], a[136:137], v[200:201], v[64:67]// 000000003E58: D3F30040 0D039188
	v_mfma_f32_16x16x32_fp8_fp8 v[64:67], a[138:139], v[202:203], v[64:67]// 000000003E60: D3F30040 0D03958A
	buffer_load_dwordx4 a[4:7], v34, s[24:27], 0 offen offset:1024// 000000003E68: E05C1400 80860422
	v_mfma_f32_16x16x32_fp8_fp8 v[64:67], a[140:141], v[204:205], v[64:67]// 000000003E70: D3F30040 0D03998C
	v_mfma_f32_16x16x32_fp8_fp8 v[64:67], a[142:143], v[206:207], v[64:67]// 000000003E78: D3F30040 0D039D8E
	v_mfma_f32_16x16x32_fp8_fp8 v[68:71], a[128:129], v[208:209], v[68:71]// 000000003E80: D3F30044 0D13A180
	v_mfma_f32_16x16x32_fp8_fp8 v[68:71], a[130:131], v[210:211], v[68:71]// 000000003E88: D3F30044 0D13A582
	buffer_load_dwordx4 a[8:11], v34, s[24:27], 0 offen offset:2048// 000000003E90: E05C1800 80860822
	v_mfma_f32_16x16x32_fp8_fp8 v[68:71], a[132:133], v[212:213], v[68:71]// 000000003E98: D3F30044 0D13A984
	v_mfma_f32_16x16x32_fp8_fp8 v[68:71], a[134:135], v[214:215], v[68:71]// 000000003EA0: D3F30044 0D13AD86
	v_mfma_f32_16x16x32_fp8_fp8 v[68:71], a[136:137], v[216:217], v[68:71]// 000000003EA8: D3F30044 0D13B188
	v_mfma_f32_16x16x32_fp8_fp8 v[68:71], a[138:139], v[218:219], v[68:71]// 000000003EB0: D3F30044 0D13B58A
	buffer_load_dwordx4 a[12:15], v34, s[24:27], 0 offen offset:3072// 000000003EB8: E05C1C00 80860C22
	v_mfma_f32_16x16x32_fp8_fp8 v[68:71], a[140:141], v[220:221], v[68:71]// 000000003EC0: D3F30044 0D13B98C
	v_mfma_f32_16x16x32_fp8_fp8 v[68:71], a[142:143], v[222:223], v[68:71]// 000000003EC8: D3F30044 0D13BD8E
	v_mfma_f32_16x16x32_fp8_fp8 v[72:75], a[144:145], v[192:193], v[72:75]// 000000003ED0: D3F30048 0D238190
	v_mfma_f32_16x16x32_fp8_fp8 v[72:75], a[146:147], v[194:195], v[72:75]// 000000003ED8: D3F30048 0D238592
	buffer_load_dwordx4 a[16:19], v35, s[24:27], 0 offen       // 000000003EE0: E05C1000 80861023
	v_mfma_f32_16x16x32_fp8_fp8 v[72:75], a[148:149], v[196:197], v[72:75]// 000000003EE8: D3F30048 0D238994
	v_mfma_f32_16x16x32_fp8_fp8 v[72:75], a[150:151], v[198:199], v[72:75]// 000000003EF0: D3F30048 0D238D96
	v_mfma_f32_16x16x32_fp8_fp8 v[72:75], a[152:153], v[200:201], v[72:75]// 000000003EF8: D3F30048 0D239198
	v_mfma_f32_16x16x32_fp8_fp8 v[72:75], a[154:155], v[202:203], v[72:75]// 000000003F00: D3F30048 0D23959A
	buffer_load_dwordx4 a[20:23], v35, s[24:27], 0 offen offset:1024// 000000003F08: E05C1400 80861423
	v_mfma_f32_16x16x32_fp8_fp8 v[72:75], a[156:157], v[204:205], v[72:75]// 000000003F10: D3F30048 0D23999C
	v_mfma_f32_16x16x32_fp8_fp8 v[72:75], a[158:159], v[206:207], v[72:75]// 000000003F18: D3F30048 0D239D9E
	v_mfma_f32_16x16x32_fp8_fp8 v[76:79], a[144:145], v[208:209], v[76:79]// 000000003F20: D3F3004C 0D33A190
	v_mfma_f32_16x16x32_fp8_fp8 v[76:79], a[146:147], v[210:211], v[76:79]// 000000003F28: D3F3004C 0D33A592
	buffer_load_dwordx4 a[24:27], v35, s[24:27], 0 offen offset:2048// 000000003F30: E05C1800 80861823
	v_mfma_f32_16x16x32_fp8_fp8 v[76:79], a[148:149], v[212:213], v[76:79]// 000000003F38: D3F3004C 0D33A994
	v_mfma_f32_16x16x32_fp8_fp8 v[76:79], a[150:151], v[214:215], v[76:79]// 000000003F40: D3F3004C 0D33AD96
	v_mfma_f32_16x16x32_fp8_fp8 v[76:79], a[152:153], v[216:217], v[76:79]// 000000003F48: D3F3004C 0D33B198
	v_mfma_f32_16x16x32_fp8_fp8 v[76:79], a[154:155], v[218:219], v[76:79]// 000000003F50: D3F3004C 0D33B59A
	buffer_load_dwordx4 a[28:31], v35, s[24:27], 0 offen offset:3072// 000000003F58: E05C1C00 80861C23
	v_mfma_f32_16x16x32_fp8_fp8 v[76:79], a[156:157], v[220:221], v[76:79]// 000000003F60: D3F3004C 0D33B99C
	v_mfma_f32_16x16x32_fp8_fp8 v[76:79], a[158:159], v[222:223], v[76:79]// 000000003F68: D3F3004C 0D33BD9E
	s_waitcnt vmcnt(28)                                        // 000000003F70: BF8C4F7C
	v_mfma_f32_16x16x32_fp8_fp8 v[80:83], a[160:161], v[192:193], v[80:83]// 000000003F74: D3F30050 0D4381A0
	v_mfma_f32_16x16x32_fp8_fp8 v[80:83], a[162:163], v[194:195], v[80:83]// 000000003F7C: D3F30050 0D4385A2
	buffer_load_dwordx4 a[32:35], v36, s[24:27], 0 offen       // 000000003F84: E05C1000 80862024
	v_mfma_f32_16x16x32_fp8_fp8 v[80:83], a[164:165], v[196:197], v[80:83]// 000000003F8C: D3F30050 0D4389A4
	v_mfma_f32_16x16x32_fp8_fp8 v[80:83], a[166:167], v[198:199], v[80:83]// 000000003F94: D3F30050 0D438DA6
	ds_read_b128 v[224:227], v2 offset:8320                    // 000000003F9C: D9FE2080 E0000002
	v_mfma_f32_16x16x32_fp8_fp8 v[80:83], a[168:169], v[200:201], v[80:83]// 000000003FA4: D3F30050 0D4391A8
	v_mfma_f32_16x16x32_fp8_fp8 v[80:83], a[170:171], v[202:203], v[80:83]// 000000003FAC: D3F30050 0D4395AA
	buffer_load_dwordx4 a[36:39], v36, s[24:27], 0 offen offset:1024// 000000003FB4: E05C1400 80862424
	v_mfma_f32_16x16x32_fp8_fp8 v[80:83], a[172:173], v[204:205], v[80:83]// 000000003FBC: D3F30050 0D4399AC
	v_mfma_f32_16x16x32_fp8_fp8 v[80:83], a[174:175], v[206:207], v[80:83]// 000000003FC4: D3F30050 0D439DAE
	ds_read_b128 v[228:231], v2 offset:8384                    // 000000003FCC: D9FE20C0 E4000002
	v_mfma_f32_16x16x32_fp8_fp8 v[84:87], a[160:161], v[208:209], v[84:87]// 000000003FD4: D3F30054 0D53A1A0
	v_mfma_f32_16x16x32_fp8_fp8 v[84:87], a[162:163], v[210:211], v[84:87]// 000000003FDC: D3F30054 0D53A5A2
	buffer_load_dwordx4 a[40:43], v36, s[24:27], 0 offen offset:2048// 000000003FE4: E05C1800 80862824
	v_mfma_f32_16x16x32_fp8_fp8 v[84:87], a[164:165], v[212:213], v[84:87]// 000000003FEC: D3F30054 0D53A9A4
	v_mfma_f32_16x16x32_fp8_fp8 v[84:87], a[166:167], v[214:215], v[84:87]// 000000003FF4: D3F30054 0D53ADA6
	ds_read_b128 v[232:235], v2 offset:8448                    // 000000003FFC: D9FE2100 E8000002
	v_mfma_f32_16x16x32_fp8_fp8 v[84:87], a[168:169], v[216:217], v[84:87]// 000000004004: D3F30054 0D53B1A8
	v_mfma_f32_16x16x32_fp8_fp8 v[84:87], a[170:171], v[218:219], v[84:87]// 00000000400C: D3F30054 0D53B5AA
	buffer_load_dwordx4 a[44:47], v36, s[24:27], 0 offen offset:3072// 000000004014: E05C1C00 80862C24
	v_mfma_f32_16x16x32_fp8_fp8 v[84:87], a[172:173], v[220:221], v[84:87]// 00000000401C: D3F30054 0D53B9AC
	v_mfma_f32_16x16x32_fp8_fp8 v[84:87], a[174:175], v[222:223], v[84:87]// 000000004024: D3F30054 0D53BDAE
	ds_read_b128 v[236:239], v2 offset:8512                    // 00000000402C: D9FE2140 EC000002
	s_waitcnt vmcnt(28)                                        // 000000004034: BF8C4F7C
	v_mfma_f32_16x16x32_fp8_fp8 v[88:91], a[176:177], v[192:193], v[88:91]// 000000004038: D3F30058 0D6381B0
	v_mfma_f32_16x16x32_fp8_fp8 v[88:91], a[178:179], v[194:195], v[88:91]// 000000004040: D3F30058 0D6385B2
	buffer_load_dwordx4 a[48:51], v37, s[24:27], 0 offen       // 000000004048: E05C1000 80863025
	v_mfma_f32_16x16x32_fp8_fp8 v[88:91], a[180:181], v[196:197], v[88:91]// 000000004050: D3F30058 0D6389B4
	v_mfma_f32_16x16x32_fp8_fp8 v[88:91], a[182:183], v[198:199], v[88:91]// 000000004058: D3F30058 0D638DB6
	ds_read_b128 v[240:243], v2 offset:9344                    // 000000004060: D9FE2480 F0000002
	v_mfma_f32_16x16x32_fp8_fp8 v[88:91], a[184:185], v[200:201], v[88:91]// 000000004068: D3F30058 0D6391B8
	v_mfma_f32_16x16x32_fp8_fp8 v[88:91], a[186:187], v[202:203], v[88:91]// 000000004070: D3F30058 0D6395BA
	buffer_load_dwordx4 a[52:55], v37, s[24:27], 0 offen offset:1024// 000000004078: E05C1400 80863425
	v_mfma_f32_16x16x32_fp8_fp8 v[88:91], a[188:189], v[204:205], v[88:91]// 000000004080: D3F30058 0D6399BC
	v_mfma_f32_16x16x32_fp8_fp8 v[88:91], a[190:191], v[206:207], v[88:91]// 000000004088: D3F30058 0D639DBE
	ds_read_b128 v[244:247], v2 offset:9408                    // 000000004090: D9FE24C0 F4000002
	v_mfma_f32_16x16x32_fp8_fp8 v[92:95], a[176:177], v[208:209], v[92:95]// 000000004098: D3F3005C 0D73A1B0
	v_mfma_f32_16x16x32_fp8_fp8 v[92:95], a[178:179], v[210:211], v[92:95]// 0000000040A0: D3F3005C 0D73A5B2
	buffer_load_dwordx4 a[56:59], v37, s[24:27], 0 offen offset:2048// 0000000040A8: E05C1800 80863825
	v_mfma_f32_16x16x32_fp8_fp8 v[92:95], a[180:181], v[212:213], v[92:95]// 0000000040B0: D3F3005C 0D73A9B4
	v_mfma_f32_16x16x32_fp8_fp8 v[92:95], a[182:183], v[214:215], v[92:95]// 0000000040B8: D3F3005C 0D73ADB6
	ds_read_b128 v[248:251], v2 offset:9472                    // 0000000040C0: D9FE2500 F8000002
	v_mfma_f32_16x16x32_fp8_fp8 v[92:95], a[184:185], v[216:217], v[92:95]// 0000000040C8: D3F3005C 0D73B1B8
	v_mfma_f32_16x16x32_fp8_fp8 v[92:95], a[186:187], v[218:219], v[92:95]// 0000000040D0: D3F3005C 0D73B5BA
	buffer_load_dwordx4 a[60:63], v37, s[24:27], 0 offen offset:3072// 0000000040D8: E05C1C00 80863C25
	v_mfma_f32_16x16x32_fp8_fp8 v[92:95], a[188:189], v[220:221], v[92:95]// 0000000040E0: D3F3005C 0D73B9BC
	v_mfma_f32_16x16x32_fp8_fp8 v[92:95], a[190:191], v[222:223], v[92:95]// 0000000040E8: D3F3005C 0D73BDBE
	ds_read_b128 v[252:255], v2 offset:9536                    // 0000000040F0: D9FE2540 FC000002
	s_waitcnt vmcnt(28)                                        // 0000000040F8: BF8C4F7C
	v_mfma_f32_16x16x32_fp8_fp8 v[96:99], a[192:193], v[192:193], v[96:99]// 0000000040FC: D3F30060 0D8381C0
	v_mfma_f32_16x16x32_fp8_fp8 v[96:99], a[194:195], v[194:195], v[96:99]// 000000004104: D3F30060 0D8385C2
	buffer_load_dwordx4 a[64:67], v38, s[24:27], 0 offen       // 00000000410C: E05C1000 80864026
	v_mfma_f32_16x16x32_fp8_fp8 v[96:99], a[196:197], v[196:197], v[96:99]// 000000004114: D3F30060 0D8389C4
	v_mfma_f32_16x16x32_fp8_fp8 v[96:99], a[198:199], v[198:199], v[96:99]// 00000000411C: D3F30060 0D838DC6
	v_mfma_f32_16x16x32_fp8_fp8 v[96:99], a[200:201], v[200:201], v[96:99]// 000000004124: D3F30060 0D8391C8
	v_mfma_f32_16x16x32_fp8_fp8 v[96:99], a[202:203], v[202:203], v[96:99]// 00000000412C: D3F30060 0D8395CA
	buffer_load_dwordx4 a[68:71], v38, s[24:27], 0 offen offset:1024// 000000004134: E05C1400 80864426
	v_mfma_f32_16x16x32_fp8_fp8 v[96:99], a[204:205], v[204:205], v[96:99]// 00000000413C: D3F30060 0D8399CC
	v_mfma_f32_16x16x32_fp8_fp8 v[96:99], a[206:207], v[206:207], v[96:99]// 000000004144: D3F30060 0D839DCE
	v_mfma_f32_16x16x32_fp8_fp8 v[100:103], a[192:193], v[208:209], v[100:103]// 00000000414C: D3F30064 0D93A1C0
	v_mfma_f32_16x16x32_fp8_fp8 v[100:103], a[194:195], v[210:211], v[100:103]// 000000004154: D3F30064 0D93A5C2
	buffer_load_dwordx4 a[72:75], v38, s[24:27], 0 offen offset:2048// 00000000415C: E05C1800 80864826
	v_mfma_f32_16x16x32_fp8_fp8 v[100:103], a[196:197], v[212:213], v[100:103]// 000000004164: D3F30064 0D93A9C4
	v_mfma_f32_16x16x32_fp8_fp8 v[100:103], a[198:199], v[214:215], v[100:103]// 00000000416C: D3F30064 0D93ADC6
	v_mfma_f32_16x16x32_fp8_fp8 v[100:103], a[200:201], v[216:217], v[100:103]// 000000004174: D3F30064 0D93B1C8
	v_mfma_f32_16x16x32_fp8_fp8 v[100:103], a[202:203], v[218:219], v[100:103]// 00000000417C: D3F30064 0D93B5CA
	buffer_load_dwordx4 a[76:79], v38, s[24:27], 0 offen offset:3072// 000000004184: E05C1C00 80864C26
	v_mfma_f32_16x16x32_fp8_fp8 v[100:103], a[204:205], v[220:221], v[100:103]// 00000000418C: D3F30064 0D93B9CC
	v_mfma_f32_16x16x32_fp8_fp8 v[100:103], a[206:207], v[222:223], v[100:103]// 000000004194: D3F30064 0D93BDCE
	s_waitcnt vmcnt(28)                                        // 00000000419C: BF8C4F7C
	v_mfma_f32_16x16x32_fp8_fp8 v[104:107], a[208:209], v[192:193], v[104:107]// 0000000041A0: D3F30068 0DA381D0
	v_mfma_f32_16x16x32_fp8_fp8 v[104:107], a[210:211], v[194:195], v[104:107]// 0000000041A8: D3F30068 0DA385D2
	buffer_load_dwordx4 a[80:83], v39, s[24:27], 0 offen       // 0000000041B0: E05C1000 80865027
	v_mfma_f32_16x16x32_fp8_fp8 v[104:107], a[212:213], v[196:197], v[104:107]// 0000000041B8: D3F30068 0DA389D4
	v_mfma_f32_16x16x32_fp8_fp8 v[104:107], a[214:215], v[198:199], v[104:107]// 0000000041C0: D3F30068 0DA38DD6
	v_mfma_f32_16x16x32_fp8_fp8 v[104:107], a[216:217], v[200:201], v[104:107]// 0000000041C8: D3F30068 0DA391D8
	v_mfma_f32_16x16x32_fp8_fp8 v[104:107], a[218:219], v[202:203], v[104:107]// 0000000041D0: D3F30068 0DA395DA
	buffer_load_dwordx4 a[84:87], v39, s[24:27], 0 offen offset:1024// 0000000041D8: E05C1400 80865427
	v_mfma_f32_16x16x32_fp8_fp8 v[104:107], a[220:221], v[204:205], v[104:107]// 0000000041E0: D3F30068 0DA399DC
	v_mfma_f32_16x16x32_fp8_fp8 v[104:107], a[222:223], v[206:207], v[104:107]// 0000000041E8: D3F30068 0DA39DDE
	v_mfma_f32_16x16x32_fp8_fp8 v[108:111], a[208:209], v[208:209], v[108:111]// 0000000041F0: D3F3006C 0DB3A1D0
	v_mfma_f32_16x16x32_fp8_fp8 v[108:111], a[210:211], v[210:211], v[108:111]// 0000000041F8: D3F3006C 0DB3A5D2
	buffer_load_dwordx4 a[88:91], v39, s[24:27], 0 offen offset:2048// 000000004200: E05C1800 80865827
	v_mfma_f32_16x16x32_fp8_fp8 v[108:111], a[212:213], v[212:213], v[108:111]// 000000004208: D3F3006C 0DB3A9D4
	v_mfma_f32_16x16x32_fp8_fp8 v[108:111], a[214:215], v[214:215], v[108:111]// 000000004210: D3F3006C 0DB3ADD6
	v_mfma_f32_16x16x32_fp8_fp8 v[108:111], a[216:217], v[216:217], v[108:111]// 000000004218: D3F3006C 0DB3B1D8
	v_mfma_f32_16x16x32_fp8_fp8 v[108:111], a[218:219], v[218:219], v[108:111]// 000000004220: D3F3006C 0DB3B5DA
	buffer_load_dwordx4 a[92:95], v39, s[24:27], 0 offen offset:3072// 000000004228: E05C1C00 80865C27
	v_mfma_f32_16x16x32_fp8_fp8 v[108:111], a[220:221], v[220:221], v[108:111]// 000000004230: D3F3006C 0DB3B9DC
	v_mfma_f32_16x16x32_fp8_fp8 v[108:111], a[222:223], v[222:223], v[108:111]// 000000004238: D3F3006C 0DB3BDDE
	s_waitcnt vmcnt(28)                                        // 000000004240: BF8C4F7C
	v_mfma_f32_16x16x32_fp8_fp8 v[112:115], a[224:225], v[192:193], v[112:115]// 000000004244: D3F30070 0DC381E0
	v_mfma_f32_16x16x32_fp8_fp8 v[112:115], a[226:227], v[194:195], v[112:115]// 00000000424C: D3F30070 0DC385E2
	buffer_load_dwordx4 a[96:99], v40, s[24:27], 0 offen       // 000000004254: E05C1000 80866028
	v_mfma_f32_16x16x32_fp8_fp8 v[112:115], a[228:229], v[196:197], v[112:115]// 00000000425C: D3F30070 0DC389E4
	v_mfma_f32_16x16x32_fp8_fp8 v[112:115], a[230:231], v[198:199], v[112:115]// 000000004264: D3F30070 0DC38DE6
	v_mfma_f32_16x16x32_fp8_fp8 v[112:115], a[232:233], v[200:201], v[112:115]// 00000000426C: D3F30070 0DC391E8
	v_mfma_f32_16x16x32_fp8_fp8 v[112:115], a[234:235], v[202:203], v[112:115]// 000000004274: D3F30070 0DC395EA
	buffer_load_dwordx4 a[100:103], v40, s[24:27], 0 offen offset:1024// 00000000427C: E05C1400 80866428
	v_mfma_f32_16x16x32_fp8_fp8 v[112:115], a[236:237], v[204:205], v[112:115]// 000000004284: D3F30070 0DC399EC
	v_mfma_f32_16x16x32_fp8_fp8 v[112:115], a[238:239], v[206:207], v[112:115]// 00000000428C: D3F30070 0DC39DEE
	v_mfma_f32_16x16x32_fp8_fp8 v[116:119], a[224:225], v[208:209], v[116:119]// 000000004294: D3F30074 0DD3A1E0
	v_mfma_f32_16x16x32_fp8_fp8 v[116:119], a[226:227], v[210:211], v[116:119]// 00000000429C: D3F30074 0DD3A5E2
	buffer_load_dwordx4 a[104:107], v40, s[24:27], 0 offen offset:2048// 0000000042A4: E05C1800 80866828
	v_mfma_f32_16x16x32_fp8_fp8 v[116:119], a[228:229], v[212:213], v[116:119]// 0000000042AC: D3F30074 0DD3A9E4
	v_mfma_f32_16x16x32_fp8_fp8 v[116:119], a[230:231], v[214:215], v[116:119]// 0000000042B4: D3F30074 0DD3ADE6
	v_mfma_f32_16x16x32_fp8_fp8 v[116:119], a[232:233], v[216:217], v[116:119]// 0000000042BC: D3F30074 0DD3B1E8
	v_mfma_f32_16x16x32_fp8_fp8 v[116:119], a[234:235], v[218:219], v[116:119]// 0000000042C4: D3F30074 0DD3B5EA
	buffer_load_dwordx4 a[108:111], v40, s[24:27], 0 offen offset:3072// 0000000042CC: E05C1C00 80866C28
	v_mfma_f32_16x16x32_fp8_fp8 v[116:119], a[236:237], v[220:221], v[116:119]// 0000000042D4: D3F30074 0DD3B9EC
	v_mfma_f32_16x16x32_fp8_fp8 v[116:119], a[238:239], v[222:223], v[116:119]// 0000000042DC: D3F30074 0DD3BDEE
	s_waitcnt vmcnt(28)                                        // 0000000042E4: BF8C4F7C
	v_mfma_f32_16x16x32_fp8_fp8 v[120:123], a[240:241], v[192:193], v[120:123]// 0000000042E8: D3F30078 0DE381F0
	v_mfma_f32_16x16x32_fp8_fp8 v[120:123], a[242:243], v[194:195], v[120:123]// 0000000042F0: D3F30078 0DE385F2
	buffer_load_dwordx4 a[112:115], v41, s[24:27], 0 offen     // 0000000042F8: E05C1000 80867029
	v_mfma_f32_16x16x32_fp8_fp8 v[120:123], a[244:245], v[196:197], v[120:123]// 000000004300: D3F30078 0DE389F4
	v_mfma_f32_16x16x32_fp8_fp8 v[120:123], a[246:247], v[198:199], v[120:123]// 000000004308: D3F30078 0DE38DF6
	v_mfma_f32_16x16x32_fp8_fp8 v[120:123], a[248:249], v[200:201], v[120:123]// 000000004310: D3F30078 0DE391F8
	v_mfma_f32_16x16x32_fp8_fp8 v[120:123], a[250:251], v[202:203], v[120:123]// 000000004318: D3F30078 0DE395FA
	buffer_load_dwordx4 a[116:119], v41, s[24:27], 0 offen offset:1024// 000000004320: E05C1400 80867429
	v_mfma_f32_16x16x32_fp8_fp8 v[120:123], a[252:253], v[204:205], v[120:123]// 000000004328: D3F30078 0DE399FC
	v_mfma_f32_16x16x32_fp8_fp8 v[120:123], a[254:255], v[206:207], v[120:123]// 000000004330: D3F30078 0DE39DFE
	v_mfma_f32_16x16x32_fp8_fp8 v[124:127], a[240:241], v[208:209], v[124:127]// 000000004338: D3F3007C 0DF3A1F0
	v_mfma_f32_16x16x32_fp8_fp8 v[124:127], a[242:243], v[210:211], v[124:127]// 000000004340: D3F3007C 0DF3A5F2
	buffer_load_dwordx4 a[120:123], v41, s[24:27], 0 offen offset:2048// 000000004348: E05C1800 80867829
	v_mfma_f32_16x16x32_fp8_fp8 v[124:127], a[244:245], v[212:213], v[124:127]// 000000004350: D3F3007C 0DF3A9F4
	v_mfma_f32_16x16x32_fp8_fp8 v[124:127], a[246:247], v[214:215], v[124:127]// 000000004358: D3F3007C 0DF3ADF6
	v_mfma_f32_16x16x32_fp8_fp8 v[124:127], a[248:249], v[216:217], v[124:127]// 000000004360: D3F3007C 0DF3B1F8
	v_mfma_f32_16x16x32_fp8_fp8 v[124:127], a[250:251], v[218:219], v[124:127]// 000000004368: D3F3007C 0DF3B5FA
	buffer_load_dwordx4 a[124:127], v41, s[24:27], 0 offen offset:3072// 000000004370: E05C1C00 80867C29
	v_mfma_f32_16x16x32_fp8_fp8 v[124:127], a[252:253], v[220:221], v[124:127]// 000000004378: D3F3007C 0DF3B9FC
	v_mfma_f32_16x16x32_fp8_fp8 v[124:127], a[254:255], v[222:223], v[124:127]// 000000004380: D3F3007C 0DF3BDFE
	s_add_u32 s60, 0x200, s80                                  // 000000004388: 803C50FF 00000200
	s_cmp_lt_u32 s60, s81                                      // 000000004390: BF0A513C
	s_cselect_b32 s57, s57, 0                                  // 000000004394: 85398039
	s_add_u32 s60, 0x200, s80                                  // 000000004398: 803C50FF 00000200
	s_cmp_lt_u32 s60, s81                                      // 0000000043A0: BF0A513C
	s_cselect_b32 s58, s58, 0                                  // 0000000043A4: 853A803A
	s_add_u32 s20, s57, s20                                    // 0000000043A8: 80141439
	s_addc_u32 s21, 0, s21                                     // 0000000043AC: 82151580
	s_add_u32 s24, s58, s24                                    // 0000000043B0: 8018183A
	s_addc_u32 s25, 0, s25                                     // 0000000043B4: 82191980
	s_add_u32 s92, s90, s92                                    // 0000000043B8: 805C5C5A
	s_addc_u32 s93, 0, s93                                     // 0000000043BC: 825D5D80
	s_addk_i32 s80, 0x100                                      // 0000000043C0: B7500100
	s_cmp_lt_i32 s80, s81                                      // 0000000043C4: BF045150
	s_cbranch_scc0 label_0844                                  // 0000000043C8: BF8402D1
	s_waitcnt vmcnt(24) lgkmcnt(0)                             // 0000000043CC: BF8C4078
	s_barrier                                                  // 0000000043D0: BF8A0000
	v_mfma_f32_16x16x32_fp8_fp8 v[128:131], a[0:1], v[224:225], v[128:131]// 0000000043D4: D3F30080 0E03C100
	v_mfma_f32_16x16x32_fp8_fp8 v[128:131], a[2:3], v[226:227], v[128:131]// 0000000043DC: D3F30080 0E03C502
	buffer_load_dwordx4 a[128:131], v34, s[92:95], 0 offen     // 0000000043E4: E05C1000 80978022
	v_mfma_f32_16x16x32_fp8_fp8 v[128:131], a[4:5], v[228:229], v[128:131]// 0000000043EC: D3F30080 0E03C904
	v_mfma_f32_16x16x32_fp8_fp8 v[128:131], a[6:7], v[230:231], v[128:131]// 0000000043F4: D3F30080 0E03CD06
	buffer_load_dword v26, s[20:23], 0 offen lds               // 0000000043FC: E0511000 8005001A
	s_add_u32 m0, 0x100, s50                                   // 000000004404: 807C32FF 00000100
	v_mfma_f32_16x16x32_fp8_fp8 v[128:131], a[8:9], v[232:233], v[128:131]// 00000000440C: D3F30080 0E03D108
	v_mfma_f32_16x16x32_fp8_fp8 v[128:131], a[10:11], v[234:235], v[128:131]// 000000004414: D3F30080 0E03D50A
	buffer_load_dwordx4 a[132:135], v34, s[92:95], 0 offen offset:1024// 00000000441C: E05C1400 80978422
	v_mfma_f32_16x16x32_fp8_fp8 v[128:131], a[12:13], v[236:237], v[128:131]// 000000004424: D3F30080 0E03D90C
	v_mfma_f32_16x16x32_fp8_fp8 v[128:131], a[14:15], v[238:239], v[128:131]// 00000000442C: D3F30080 0E03DD0E
	buffer_load_dword v27, s[20:23], 0 offen lds               // 000000004434: E0511000 8005001B
	s_add_u32 m0, 0x200, s50                                   // 00000000443C: 807C32FF 00000200
	v_mfma_f32_16x16x32_fp8_fp8 v[132:135], a[0:1], v[240:241], v[132:135]// 000000004444: D3F30084 0E13E100
	v_mfma_f32_16x16x32_fp8_fp8 v[132:135], a[2:3], v[242:243], v[132:135]// 00000000444C: D3F30084 0E13E502
	buffer_load_dwordx4 a[136:139], v34, s[92:95], 0 offen offset:2048// 000000004454: E05C1800 80978822
	v_mfma_f32_16x16x32_fp8_fp8 v[132:135], a[4:5], v[244:245], v[132:135]// 00000000445C: D3F30084 0E13E904
	v_mfma_f32_16x16x32_fp8_fp8 v[132:135], a[6:7], v[246:247], v[132:135]// 000000004464: D3F30084 0E13ED06
	buffer_load_dword v28, s[20:23], 0 offen lds               // 00000000446C: E0511000 8005001C
	s_add_u32 m0, 0x300, s50                                   // 000000004474: 807C32FF 00000300
	v_mfma_f32_16x16x32_fp8_fp8 v[132:135], a[8:9], v[248:249], v[132:135]// 00000000447C: D3F30084 0E13F108
	v_mfma_f32_16x16x32_fp8_fp8 v[132:135], a[10:11], v[250:251], v[132:135]// 000000004484: D3F30084 0E13F50A
	buffer_load_dwordx4 a[140:143], v34, s[92:95], 0 offen offset:3072// 00000000448C: E05C1C00 80978C22
	v_mfma_f32_16x16x32_fp8_fp8 v[132:135], a[12:13], v[252:253], v[132:135]// 000000004494: D3F30084 0E13F90C
	v_mfma_f32_16x16x32_fp8_fp8 v[132:135], a[14:15], v[254:255], v[132:135]// 00000000449C: D3F30084 0E13FD0E
	buffer_load_dword v29, s[20:23], 0 offen lds               // 0000000044A4: E0511000 8005001D
	s_add_u32 m0, 0x400, s50                                   // 0000000044AC: 807C32FF 00000400
	v_mfma_f32_16x16x32_fp8_fp8 v[136:139], a[16:17], v[224:225], v[136:139]// 0000000044B4: D3F30088 0E23C110
	v_mfma_f32_16x16x32_fp8_fp8 v[136:139], a[18:19], v[226:227], v[136:139]// 0000000044BC: D3F30088 0E23C512
	buffer_load_dwordx4 a[144:147], v35, s[92:95], 0 offen     // 0000000044C4: E05C1000 80979023
	v_mfma_f32_16x16x32_fp8_fp8 v[136:139], a[20:21], v[228:229], v[136:139]// 0000000044CC: D3F30088 0E23C914
	v_mfma_f32_16x16x32_fp8_fp8 v[136:139], a[22:23], v[230:231], v[136:139]// 0000000044D4: D3F30088 0E23CD16
	buffer_load_dword v30, s[20:23], 0 offen lds               // 0000000044DC: E0511000 8005001E
	s_add_u32 m0, 0x500, s50                                   // 0000000044E4: 807C32FF 00000500
	v_mfma_f32_16x16x32_fp8_fp8 v[136:139], a[24:25], v[232:233], v[136:139]// 0000000044EC: D3F30088 0E23D118
	v_mfma_f32_16x16x32_fp8_fp8 v[136:139], a[26:27], v[234:235], v[136:139]// 0000000044F4: D3F30088 0E23D51A
	buffer_load_dwordx4 a[148:151], v35, s[92:95], 0 offen offset:1024// 0000000044FC: E05C1400 80979423
	v_mfma_f32_16x16x32_fp8_fp8 v[136:139], a[28:29], v[236:237], v[136:139]// 000000004504: D3F30088 0E23D91C
	v_mfma_f32_16x16x32_fp8_fp8 v[136:139], a[30:31], v[238:239], v[136:139]// 00000000450C: D3F30088 0E23DD1E
	buffer_load_dword v31, s[20:23], 0 offen lds               // 000000004514: E0511000 8005001F
	s_add_u32 m0, 0x600, s50                                   // 00000000451C: 807C32FF 00000600
	v_mfma_f32_16x16x32_fp8_fp8 v[140:143], a[16:17], v[240:241], v[140:143]// 000000004524: D3F3008C 0E33E110
	v_mfma_f32_16x16x32_fp8_fp8 v[140:143], a[18:19], v[242:243], v[140:143]// 00000000452C: D3F3008C 0E33E512
	buffer_load_dwordx4 a[152:155], v35, s[92:95], 0 offen offset:2048// 000000004534: E05C1800 80979823
	v_mfma_f32_16x16x32_fp8_fp8 v[140:143], a[20:21], v[244:245], v[140:143]// 00000000453C: D3F3008C 0E33E914
	v_mfma_f32_16x16x32_fp8_fp8 v[140:143], a[22:23], v[246:247], v[140:143]// 000000004544: D3F3008C 0E33ED16
	buffer_load_dword v32, s[20:23], 0 offen lds               // 00000000454C: E0511000 80050020
	s_add_u32 m0, 0x700, s50                                   // 000000004554: 807C32FF 00000700
	v_mfma_f32_16x16x32_fp8_fp8 v[140:143], a[24:25], v[248:249], v[140:143]// 00000000455C: D3F3008C 0E33F118
	v_mfma_f32_16x16x32_fp8_fp8 v[140:143], a[26:27], v[250:251], v[140:143]// 000000004564: D3F3008C 0E33F51A
	buffer_load_dwordx4 a[156:159], v35, s[92:95], 0 offen offset:3072// 00000000456C: E05C1C00 80979C23
	v_mfma_f32_16x16x32_fp8_fp8 v[140:143], a[28:29], v[252:253], v[140:143]// 000000004574: D3F3008C 0E33F91C
	v_mfma_f32_16x16x32_fp8_fp8 v[140:143], a[30:31], v[254:255], v[140:143]// 00000000457C: D3F3008C 0E33FD1E
	buffer_load_dword v33, s[20:23], 0 offen lds               // 000000004584: E0511000 80050021
	s_add_u32 m0, 0, s51                                       // 00000000458C: 807C3380
	s_waitcnt vmcnt(36)                                        // 000000004590: BF8C8F74
	v_mfma_f32_16x16x32_fp8_fp8 v[144:147], a[32:33], v[224:225], v[144:147]// 000000004594: D3F30090 0E43C120
	v_mfma_f32_16x16x32_fp8_fp8 v[144:147], a[34:35], v[226:227], v[144:147]// 00000000459C: D3F30090 0E43C522
	buffer_load_dwordx4 a[160:163], v36, s[92:95], 0 offen     // 0000000045A4: E05C1000 8097A024
	v_mfma_f32_16x16x32_fp8_fp8 v[144:147], a[36:37], v[228:229], v[144:147]// 0000000045AC: D3F30090 0E43C924
	v_mfma_f32_16x16x32_fp8_fp8 v[144:147], a[38:39], v[230:231], v[144:147]// 0000000045B4: D3F30090 0E43CD26
	v_mfma_f32_16x16x32_fp8_fp8 v[144:147], a[40:41], v[232:233], v[144:147]// 0000000045BC: D3F30090 0E43D128
	v_mfma_f32_16x16x32_fp8_fp8 v[144:147], a[42:43], v[234:235], v[144:147]// 0000000045C4: D3F30090 0E43D52A
	buffer_load_dwordx4 a[164:167], v36, s[92:95], 0 offen offset:1024// 0000000045CC: E05C1400 8097A424
	v_mfma_f32_16x16x32_fp8_fp8 v[144:147], a[44:45], v[236:237], v[144:147]// 0000000045D4: D3F30090 0E43D92C
	v_mfma_f32_16x16x32_fp8_fp8 v[144:147], a[46:47], v[238:239], v[144:147]// 0000000045DC: D3F30090 0E43DD2E
	v_mfma_f32_16x16x32_fp8_fp8 v[148:151], a[32:33], v[240:241], v[148:151]// 0000000045E4: D3F30094 0E53E120
	v_mfma_f32_16x16x32_fp8_fp8 v[148:151], a[34:35], v[242:243], v[148:151]// 0000000045EC: D3F30094 0E53E522
	buffer_load_dwordx4 a[168:171], v36, s[92:95], 0 offen offset:2048// 0000000045F4: E05C1800 8097A824
	v_mfma_f32_16x16x32_fp8_fp8 v[148:151], a[36:37], v[244:245], v[148:151]// 0000000045FC: D3F30094 0E53E924
	v_mfma_f32_16x16x32_fp8_fp8 v[148:151], a[38:39], v[246:247], v[148:151]// 000000004604: D3F30094 0E53ED26
	v_mfma_f32_16x16x32_fp8_fp8 v[148:151], a[40:41], v[248:249], v[148:151]// 00000000460C: D3F30094 0E53F128
	v_mfma_f32_16x16x32_fp8_fp8 v[148:151], a[42:43], v[250:251], v[148:151]// 000000004614: D3F30094 0E53F52A
	buffer_load_dwordx4 a[172:175], v36, s[92:95], 0 offen offset:3072// 00000000461C: E05C1C00 8097AC24
	v_mfma_f32_16x16x32_fp8_fp8 v[148:151], a[44:45], v[252:253], v[148:151]// 000000004624: D3F30094 0E53F92C
	v_mfma_f32_16x16x32_fp8_fp8 v[148:151], a[46:47], v[254:255], v[148:151]// 00000000462C: D3F30094 0E53FD2E
	s_waitcnt vmcnt(36)                                        // 000000004634: BF8C8F74
	v_mfma_f32_16x16x32_fp8_fp8 v[152:155], a[48:49], v[224:225], v[152:155]// 000000004638: D3F30098 0E63C130
	v_mfma_f32_16x16x32_fp8_fp8 v[152:155], a[50:51], v[226:227], v[152:155]// 000000004640: D3F30098 0E63C532
	buffer_load_dwordx4 a[176:179], v37, s[92:95], 0 offen     // 000000004648: E05C1000 8097B025
	v_mfma_f32_16x16x32_fp8_fp8 v[152:155], a[52:53], v[228:229], v[152:155]// 000000004650: D3F30098 0E63C934
	v_mfma_f32_16x16x32_fp8_fp8 v[152:155], a[54:55], v[230:231], v[152:155]// 000000004658: D3F30098 0E63CD36
	v_mfma_f32_16x16x32_fp8_fp8 v[152:155], a[56:57], v[232:233], v[152:155]// 000000004660: D3F30098 0E63D138
	v_mfma_f32_16x16x32_fp8_fp8 v[152:155], a[58:59], v[234:235], v[152:155]// 000000004668: D3F30098 0E63D53A
	buffer_load_dwordx4 a[180:183], v37, s[92:95], 0 offen offset:1024// 000000004670: E05C1400 8097B425
	v_mfma_f32_16x16x32_fp8_fp8 v[152:155], a[60:61], v[236:237], v[152:155]// 000000004678: D3F30098 0E63D93C
	v_mfma_f32_16x16x32_fp8_fp8 v[152:155], a[62:63], v[238:239], v[152:155]// 000000004680: D3F30098 0E63DD3E
	v_mfma_f32_16x16x32_fp8_fp8 v[156:159], a[48:49], v[240:241], v[156:159]// 000000004688: D3F3009C 0E73E130
	v_mfma_f32_16x16x32_fp8_fp8 v[156:159], a[50:51], v[242:243], v[156:159]// 000000004690: D3F3009C 0E73E532
	buffer_load_dwordx4 a[184:187], v37, s[92:95], 0 offen offset:2048// 000000004698: E05C1800 8097B825
	v_mfma_f32_16x16x32_fp8_fp8 v[156:159], a[52:53], v[244:245], v[156:159]// 0000000046A0: D3F3009C 0E73E934
	v_mfma_f32_16x16x32_fp8_fp8 v[156:159], a[54:55], v[246:247], v[156:159]// 0000000046A8: D3F3009C 0E73ED36
	v_mfma_f32_16x16x32_fp8_fp8 v[156:159], a[56:57], v[248:249], v[156:159]// 0000000046B0: D3F3009C 0E73F138
	v_mfma_f32_16x16x32_fp8_fp8 v[156:159], a[58:59], v[250:251], v[156:159]// 0000000046B8: D3F3009C 0E73F53A
	buffer_load_dwordx4 a[188:191], v37, s[92:95], 0 offen offset:3072// 0000000046C0: E05C1C00 8097BC25
	v_mfma_f32_16x16x32_fp8_fp8 v[156:159], a[60:61], v[252:253], v[156:159]// 0000000046C8: D3F3009C 0E73F93C
	v_mfma_f32_16x16x32_fp8_fp8 v[156:159], a[62:63], v[254:255], v[156:159]// 0000000046D0: D3F3009C 0E73FD3E
	s_waitcnt vmcnt(36)                                        // 0000000046D8: BF8C8F74
	v_mfma_f32_16x16x32_fp8_fp8 v[160:163], a[64:65], v[224:225], v[160:163]// 0000000046DC: D3F300A0 0E83C140
	v_mfma_f32_16x16x32_fp8_fp8 v[160:163], a[66:67], v[226:227], v[160:163]// 0000000046E4: D3F300A0 0E83C542
	buffer_load_dwordx4 a[192:195], v38, s[92:95], 0 offen     // 0000000046EC: E05C1000 8097C026
	v_mfma_f32_16x16x32_fp8_fp8 v[160:163], a[68:69], v[228:229], v[160:163]// 0000000046F4: D3F300A0 0E83C944
	v_mfma_f32_16x16x32_fp8_fp8 v[160:163], a[70:71], v[230:231], v[160:163]// 0000000046FC: D3F300A0 0E83CD46
	v_mfma_f32_16x16x32_fp8_fp8 v[160:163], a[72:73], v[232:233], v[160:163]// 000000004704: D3F300A0 0E83D148
	v_mfma_f32_16x16x32_fp8_fp8 v[160:163], a[74:75], v[234:235], v[160:163]// 00000000470C: D3F300A0 0E83D54A
	buffer_load_dwordx4 a[196:199], v38, s[92:95], 0 offen offset:1024// 000000004714: E05C1400 8097C426
	v_mfma_f32_16x16x32_fp8_fp8 v[160:163], a[76:77], v[236:237], v[160:163]// 00000000471C: D3F300A0 0E83D94C
	v_mfma_f32_16x16x32_fp8_fp8 v[160:163], a[78:79], v[238:239], v[160:163]// 000000004724: D3F300A0 0E83DD4E
	v_mfma_f32_16x16x32_fp8_fp8 v[164:167], a[64:65], v[240:241], v[164:167]// 00000000472C: D3F300A4 0E93E140
	v_mfma_f32_16x16x32_fp8_fp8 v[164:167], a[66:67], v[242:243], v[164:167]// 000000004734: D3F300A4 0E93E542
	buffer_load_dwordx4 a[200:203], v38, s[92:95], 0 offen offset:2048// 00000000473C: E05C1800 8097C826
	v_mfma_f32_16x16x32_fp8_fp8 v[164:167], a[68:69], v[244:245], v[164:167]// 000000004744: D3F300A4 0E93E944
	v_mfma_f32_16x16x32_fp8_fp8 v[164:167], a[70:71], v[246:247], v[164:167]// 00000000474C: D3F300A4 0E93ED46
	v_mfma_f32_16x16x32_fp8_fp8 v[164:167], a[72:73], v[248:249], v[164:167]// 000000004754: D3F300A4 0E93F148
	v_mfma_f32_16x16x32_fp8_fp8 v[164:167], a[74:75], v[250:251], v[164:167]// 00000000475C: D3F300A4 0E93F54A
	buffer_load_dwordx4 a[204:207], v38, s[92:95], 0 offen offset:3072// 000000004764: E05C1C00 8097CC26
	v_mfma_f32_16x16x32_fp8_fp8 v[164:167], a[76:77], v[252:253], v[164:167]// 00000000476C: D3F300A4 0E93F94C
	v_mfma_f32_16x16x32_fp8_fp8 v[164:167], a[78:79], v[254:255], v[164:167]// 000000004774: D3F300A4 0E93FD4E
	s_waitcnt vmcnt(36)                                        // 00000000477C: BF8C8F74
	v_mfma_f32_16x16x32_fp8_fp8 v[168:171], a[80:81], v[224:225], v[168:171]// 000000004780: D3F300A8 0EA3C150
	v_mfma_f32_16x16x32_fp8_fp8 v[168:171], a[82:83], v[226:227], v[168:171]// 000000004788: D3F300A8 0EA3C552
	buffer_load_dwordx4 a[208:211], v39, s[92:95], 0 offen     // 000000004790: E05C1000 8097D027
	v_mfma_f32_16x16x32_fp8_fp8 v[168:171], a[84:85], v[228:229], v[168:171]// 000000004798: D3F300A8 0EA3C954
	v_mfma_f32_16x16x32_fp8_fp8 v[168:171], a[86:87], v[230:231], v[168:171]// 0000000047A0: D3F300A8 0EA3CD56
	v_mfma_f32_16x16x32_fp8_fp8 v[168:171], a[88:89], v[232:233], v[168:171]// 0000000047A8: D3F300A8 0EA3D158
	v_mfma_f32_16x16x32_fp8_fp8 v[168:171], a[90:91], v[234:235], v[168:171]// 0000000047B0: D3F300A8 0EA3D55A
	buffer_load_dwordx4 a[212:215], v39, s[92:95], 0 offen offset:1024// 0000000047B8: E05C1400 8097D427
	v_mfma_f32_16x16x32_fp8_fp8 v[168:171], a[92:93], v[236:237], v[168:171]// 0000000047C0: D3F300A8 0EA3D95C
	v_mfma_f32_16x16x32_fp8_fp8 v[168:171], a[94:95], v[238:239], v[168:171]// 0000000047C8: D3F300A8 0EA3DD5E
	v_mfma_f32_16x16x32_fp8_fp8 v[172:175], a[80:81], v[240:241], v[172:175]// 0000000047D0: D3F300AC 0EB3E150
	v_mfma_f32_16x16x32_fp8_fp8 v[172:175], a[82:83], v[242:243], v[172:175]// 0000000047D8: D3F300AC 0EB3E552
	buffer_load_dwordx4 a[216:219], v39, s[92:95], 0 offen offset:2048// 0000000047E0: E05C1800 8097D827
	v_mfma_f32_16x16x32_fp8_fp8 v[172:175], a[84:85], v[244:245], v[172:175]// 0000000047E8: D3F300AC 0EB3E954
	v_mfma_f32_16x16x32_fp8_fp8 v[172:175], a[86:87], v[246:247], v[172:175]// 0000000047F0: D3F300AC 0EB3ED56
	v_mfma_f32_16x16x32_fp8_fp8 v[172:175], a[88:89], v[248:249], v[172:175]// 0000000047F8: D3F300AC 0EB3F158
	v_mfma_f32_16x16x32_fp8_fp8 v[172:175], a[90:91], v[250:251], v[172:175]// 000000004800: D3F300AC 0EB3F55A
	buffer_load_dwordx4 a[220:223], v39, s[92:95], 0 offen offset:3072// 000000004808: E05C1C00 8097DC27
	v_mfma_f32_16x16x32_fp8_fp8 v[172:175], a[92:93], v[252:253], v[172:175]// 000000004810: D3F300AC 0EB3F95C
	v_mfma_f32_16x16x32_fp8_fp8 v[172:175], a[94:95], v[254:255], v[172:175]// 000000004818: D3F300AC 0EB3FD5E
	s_waitcnt vmcnt(36)                                        // 000000004820: BF8C8F74
	v_mfma_f32_16x16x32_fp8_fp8 v[176:179], a[96:97], v[224:225], v[176:179]// 000000004824: D3F300B0 0EC3C160
	v_mfma_f32_16x16x32_fp8_fp8 v[176:179], a[98:99], v[226:227], v[176:179]// 00000000482C: D3F300B0 0EC3C562
	buffer_load_dwordx4 a[224:227], v40, s[92:95], 0 offen     // 000000004834: E05C1000 8097E028
	v_mfma_f32_16x16x32_fp8_fp8 v[176:179], a[100:101], v[228:229], v[176:179]// 00000000483C: D3F300B0 0EC3C964
	v_mfma_f32_16x16x32_fp8_fp8 v[176:179], a[102:103], v[230:231], v[176:179]// 000000004844: D3F300B0 0EC3CD66
	v_mfma_f32_16x16x32_fp8_fp8 v[176:179], a[104:105], v[232:233], v[176:179]// 00000000484C: D3F300B0 0EC3D168
	v_mfma_f32_16x16x32_fp8_fp8 v[176:179], a[106:107], v[234:235], v[176:179]// 000000004854: D3F300B0 0EC3D56A
	buffer_load_dwordx4 a[228:231], v40, s[92:95], 0 offen offset:1024// 00000000485C: E05C1400 8097E428
	v_mfma_f32_16x16x32_fp8_fp8 v[176:179], a[108:109], v[236:237], v[176:179]// 000000004864: D3F300B0 0EC3D96C
	v_mfma_f32_16x16x32_fp8_fp8 v[176:179], a[110:111], v[238:239], v[176:179]// 00000000486C: D3F300B0 0EC3DD6E
	v_mfma_f32_16x16x32_fp8_fp8 v[180:183], a[96:97], v[240:241], v[180:183]// 000000004874: D3F300B4 0ED3E160
	v_mfma_f32_16x16x32_fp8_fp8 v[180:183], a[98:99], v[242:243], v[180:183]// 00000000487C: D3F300B4 0ED3E562
	buffer_load_dwordx4 a[232:235], v40, s[92:95], 0 offen offset:2048// 000000004884: E05C1800 8097E828
	v_mfma_f32_16x16x32_fp8_fp8 v[180:183], a[100:101], v[244:245], v[180:183]// 00000000488C: D3F300B4 0ED3E964
	v_mfma_f32_16x16x32_fp8_fp8 v[180:183], a[102:103], v[246:247], v[180:183]// 000000004894: D3F300B4 0ED3ED66
	v_mfma_f32_16x16x32_fp8_fp8 v[180:183], a[104:105], v[248:249], v[180:183]// 00000000489C: D3F300B4 0ED3F168
	v_mfma_f32_16x16x32_fp8_fp8 v[180:183], a[106:107], v[250:251], v[180:183]// 0000000048A4: D3F300B4 0ED3F56A
	buffer_load_dwordx4 a[236:239], v40, s[92:95], 0 offen offset:3072// 0000000048AC: E05C1C00 8097EC28
	v_mfma_f32_16x16x32_fp8_fp8 v[180:183], a[108:109], v[252:253], v[180:183]// 0000000048B4: D3F300B4 0ED3F96C
	v_mfma_f32_16x16x32_fp8_fp8 v[180:183], a[110:111], v[254:255], v[180:183]// 0000000048BC: D3F300B4 0ED3FD6E
	s_waitcnt vmcnt(36)                                        // 0000000048C4: BF8C8F74
	v_mfma_f32_16x16x32_fp8_fp8 v[184:187], a[112:113], v[224:225], v[184:187]// 0000000048C8: D3F300B8 0EE3C170
	v_mfma_f32_16x16x32_fp8_fp8 v[184:187], a[114:115], v[226:227], v[184:187]// 0000000048D0: D3F300B8 0EE3C572
	buffer_load_dwordx4 a[240:243], v41, s[92:95], 0 offen     // 0000000048D8: E05C1000 8097F029
	v_mfma_f32_16x16x32_fp8_fp8 v[184:187], a[116:117], v[228:229], v[184:187]// 0000000048E0: D3F300B8 0EE3C974
	v_mfma_f32_16x16x32_fp8_fp8 v[184:187], a[118:119], v[230:231], v[184:187]// 0000000048E8: D3F300B8 0EE3CD76
	v_mfma_f32_16x16x32_fp8_fp8 v[184:187], a[120:121], v[232:233], v[184:187]// 0000000048F0: D3F300B8 0EE3D178
	v_mfma_f32_16x16x32_fp8_fp8 v[184:187], a[122:123], v[234:235], v[184:187]// 0000000048F8: D3F300B8 0EE3D57A
	buffer_load_dwordx4 a[244:247], v41, s[92:95], 0 offen offset:1024// 000000004900: E05C1400 8097F429
	v_mfma_f32_16x16x32_fp8_fp8 v[184:187], a[124:125], v[236:237], v[184:187]// 000000004908: D3F300B8 0EE3D97C
	v_mfma_f32_16x16x32_fp8_fp8 v[184:187], a[126:127], v[238:239], v[184:187]// 000000004910: D3F300B8 0EE3DD7E
	v_mfma_f32_16x16x32_fp8_fp8 v[188:191], a[112:113], v[240:241], v[188:191]// 000000004918: D3F300BC 0EF3E170
	v_mfma_f32_16x16x32_fp8_fp8 v[188:191], a[114:115], v[242:243], v[188:191]// 000000004920: D3F300BC 0EF3E572
	buffer_load_dwordx4 a[248:251], v41, s[92:95], 0 offen offset:2048// 000000004928: E05C1800 8097F829
	v_mfma_f32_16x16x32_fp8_fp8 v[188:191], a[116:117], v[244:245], v[188:191]// 000000004930: D3F300BC 0EF3E974
	v_mfma_f32_16x16x32_fp8_fp8 v[188:191], a[118:119], v[246:247], v[188:191]// 000000004938: D3F300BC 0EF3ED76
	v_mfma_f32_16x16x32_fp8_fp8 v[188:191], a[120:121], v[248:249], v[188:191]// 000000004940: D3F300BC 0EF3F178
	v_mfma_f32_16x16x32_fp8_fp8 v[188:191], a[122:123], v[250:251], v[188:191]// 000000004948: D3F300BC 0EF3F57A
	buffer_load_dwordx4 a[252:255], v41, s[92:95], 0 offen offset:3072// 000000004950: E05C1C00 8097FC29
	v_mfma_f32_16x16x32_fp8_fp8 v[188:191], a[124:125], v[252:253], v[188:191]// 000000004958: D3F300BC 0EF3F97C
	v_mfma_f32_16x16x32_fp8_fp8 v[188:191], a[126:127], v[254:255], v[188:191]// 000000004960: D3F300BC 0EF3FD7E
	s_waitcnt vmcnt(24)                                        // 000000004968: BF8C4F78
	s_barrier                                                  // 00000000496C: BF8A0000
	v_mfma_f32_16x16x32_fp8_fp8 v[64:67], a[128:129], v[224:225], v[64:67]// 000000004970: D3F30040 0D03C180
	v_mfma_f32_16x16x32_fp8_fp8 v[64:67], a[130:131], v[226:227], v[64:67]// 000000004978: D3F30040 0D03C582
	buffer_load_dwordx4 a[0:3], v34, s[24:27], 0 offen         // 000000004980: E05C1000 80860022
	v_mfma_f32_16x16x32_fp8_fp8 v[64:67], a[132:133], v[228:229], v[64:67]// 000000004988: D3F30040 0D03C984
	v_mfma_f32_16x16x32_fp8_fp8 v[64:67], a[134:135], v[230:231], v[64:67]// 000000004990: D3F30040 0D03CD86
	v_mfma_f32_16x16x32_fp8_fp8 v[64:67], a[136:137], v[232:233], v[64:67]// 000000004998: D3F30040 0D03D188
	v_mfma_f32_16x16x32_fp8_fp8 v[64:67], a[138:139], v[234:235], v[64:67]// 0000000049A0: D3F30040 0D03D58A
	buffer_load_dwordx4 a[4:7], v34, s[24:27], 0 offen offset:1024// 0000000049A8: E05C1400 80860422
	v_mfma_f32_16x16x32_fp8_fp8 v[64:67], a[140:141], v[236:237], v[64:67]// 0000000049B0: D3F30040 0D03D98C
	v_mfma_f32_16x16x32_fp8_fp8 v[64:67], a[142:143], v[238:239], v[64:67]// 0000000049B8: D3F30040 0D03DD8E
	v_mfma_f32_16x16x32_fp8_fp8 v[68:71], a[128:129], v[240:241], v[68:71]// 0000000049C0: D3F30044 0D13E180
	v_mfma_f32_16x16x32_fp8_fp8 v[68:71], a[130:131], v[242:243], v[68:71]// 0000000049C8: D3F30044 0D13E582
	buffer_load_dwordx4 a[8:11], v34, s[24:27], 0 offen offset:2048// 0000000049D0: E05C1800 80860822
	v_mfma_f32_16x16x32_fp8_fp8 v[68:71], a[132:133], v[244:245], v[68:71]// 0000000049D8: D3F30044 0D13E984
	v_mfma_f32_16x16x32_fp8_fp8 v[68:71], a[134:135], v[246:247], v[68:71]// 0000000049E0: D3F30044 0D13ED86
	v_mfma_f32_16x16x32_fp8_fp8 v[68:71], a[136:137], v[248:249], v[68:71]// 0000000049E8: D3F30044 0D13F188
	v_mfma_f32_16x16x32_fp8_fp8 v[68:71], a[138:139], v[250:251], v[68:71]// 0000000049F0: D3F30044 0D13F58A
	buffer_load_dwordx4 a[12:15], v34, s[24:27], 0 offen offset:3072// 0000000049F8: E05C1C00 80860C22
	v_mfma_f32_16x16x32_fp8_fp8 v[68:71], a[140:141], v[252:253], v[68:71]// 000000004A00: D3F30044 0D13F98C
	v_mfma_f32_16x16x32_fp8_fp8 v[68:71], a[142:143], v[254:255], v[68:71]// 000000004A08: D3F30044 0D13FD8E
	v_mfma_f32_16x16x32_fp8_fp8 v[72:75], a[144:145], v[224:225], v[72:75]// 000000004A10: D3F30048 0D23C190
	v_mfma_f32_16x16x32_fp8_fp8 v[72:75], a[146:147], v[226:227], v[72:75]// 000000004A18: D3F30048 0D23C592
	buffer_load_dwordx4 a[16:19], v35, s[24:27], 0 offen       // 000000004A20: E05C1000 80861023
	v_mfma_f32_16x16x32_fp8_fp8 v[72:75], a[148:149], v[228:229], v[72:75]// 000000004A28: D3F30048 0D23C994
	v_mfma_f32_16x16x32_fp8_fp8 v[72:75], a[150:151], v[230:231], v[72:75]// 000000004A30: D3F30048 0D23CD96
	v_mfma_f32_16x16x32_fp8_fp8 v[72:75], a[152:153], v[232:233], v[72:75]// 000000004A38: D3F30048 0D23D198
	v_mfma_f32_16x16x32_fp8_fp8 v[72:75], a[154:155], v[234:235], v[72:75]// 000000004A40: D3F30048 0D23D59A
	buffer_load_dwordx4 a[20:23], v35, s[24:27], 0 offen offset:1024// 000000004A48: E05C1400 80861423
	v_mfma_f32_16x16x32_fp8_fp8 v[72:75], a[156:157], v[236:237], v[72:75]// 000000004A50: D3F30048 0D23D99C
	v_mfma_f32_16x16x32_fp8_fp8 v[72:75], a[158:159], v[238:239], v[72:75]// 000000004A58: D3F30048 0D23DD9E
	v_mfma_f32_16x16x32_fp8_fp8 v[76:79], a[144:145], v[240:241], v[76:79]// 000000004A60: D3F3004C 0D33E190
	v_mfma_f32_16x16x32_fp8_fp8 v[76:79], a[146:147], v[242:243], v[76:79]// 000000004A68: D3F3004C 0D33E592
	buffer_load_dwordx4 a[24:27], v35, s[24:27], 0 offen offset:2048// 000000004A70: E05C1800 80861823
	v_mfma_f32_16x16x32_fp8_fp8 v[76:79], a[148:149], v[244:245], v[76:79]// 000000004A78: D3F3004C 0D33E994
	v_mfma_f32_16x16x32_fp8_fp8 v[76:79], a[150:151], v[246:247], v[76:79]// 000000004A80: D3F3004C 0D33ED96
	v_mfma_f32_16x16x32_fp8_fp8 v[76:79], a[152:153], v[248:249], v[76:79]// 000000004A88: D3F3004C 0D33F198
	v_mfma_f32_16x16x32_fp8_fp8 v[76:79], a[154:155], v[250:251], v[76:79]// 000000004A90: D3F3004C 0D33F59A
	buffer_load_dwordx4 a[28:31], v35, s[24:27], 0 offen offset:3072// 000000004A98: E05C1C00 80861C23
	v_mfma_f32_16x16x32_fp8_fp8 v[76:79], a[156:157], v[252:253], v[76:79]// 000000004AA0: D3F3004C 0D33F99C
	v_mfma_f32_16x16x32_fp8_fp8 v[76:79], a[158:159], v[254:255], v[76:79]// 000000004AA8: D3F3004C 0D33FD9E
	s_waitcnt vmcnt(28)                                        // 000000004AB0: BF8C4F7C
	v_mfma_f32_16x16x32_fp8_fp8 v[80:83], a[160:161], v[224:225], v[80:83]// 000000004AB4: D3F30050 0D43C1A0
	v_mfma_f32_16x16x32_fp8_fp8 v[80:83], a[162:163], v[226:227], v[80:83]// 000000004ABC: D3F30050 0D43C5A2
	buffer_load_dwordx4 a[32:35], v36, s[24:27], 0 offen       // 000000004AC4: E05C1000 80862024
	v_mfma_f32_16x16x32_fp8_fp8 v[80:83], a[164:165], v[228:229], v[80:83]// 000000004ACC: D3F30050 0D43C9A4
	v_mfma_f32_16x16x32_fp8_fp8 v[80:83], a[166:167], v[230:231], v[80:83]// 000000004AD4: D3F30050 0D43CDA6
	ds_read_b128 v[192:195], v2                                // 000000004ADC: D9FE0000 C0000002
	v_mfma_f32_16x16x32_fp8_fp8 v[80:83], a[168:169], v[232:233], v[80:83]// 000000004AE4: D3F30050 0D43D1A8
	v_mfma_f32_16x16x32_fp8_fp8 v[80:83], a[170:171], v[234:235], v[80:83]// 000000004AEC: D3F30050 0D43D5AA
	buffer_load_dwordx4 a[36:39], v36, s[24:27], 0 offen offset:1024// 000000004AF4: E05C1400 80862424
	v_mfma_f32_16x16x32_fp8_fp8 v[80:83], a[172:173], v[236:237], v[80:83]// 000000004AFC: D3F30050 0D43D9AC
	v_mfma_f32_16x16x32_fp8_fp8 v[80:83], a[174:175], v[238:239], v[80:83]// 000000004B04: D3F30050 0D43DDAE
	ds_read_b128 v[196:199], v2 offset:64                      // 000000004B0C: D9FE0040 C4000002
	v_mfma_f32_16x16x32_fp8_fp8 v[84:87], a[160:161], v[240:241], v[84:87]// 000000004B14: D3F30054 0D53E1A0
	v_mfma_f32_16x16x32_fp8_fp8 v[84:87], a[162:163], v[242:243], v[84:87]// 000000004B1C: D3F30054 0D53E5A2
	buffer_load_dwordx4 a[40:43], v36, s[24:27], 0 offen offset:2048// 000000004B24: E05C1800 80862824
	v_mfma_f32_16x16x32_fp8_fp8 v[84:87], a[164:165], v[244:245], v[84:87]// 000000004B2C: D3F30054 0D53E9A4
	v_mfma_f32_16x16x32_fp8_fp8 v[84:87], a[166:167], v[246:247], v[84:87]// 000000004B34: D3F30054 0D53EDA6
	ds_read_b128 v[200:203], v2 offset:128                     // 000000004B3C: D9FE0080 C8000002
	v_mfma_f32_16x16x32_fp8_fp8 v[84:87], a[168:169], v[248:249], v[84:87]// 000000004B44: D3F30054 0D53F1A8
	v_mfma_f32_16x16x32_fp8_fp8 v[84:87], a[170:171], v[250:251], v[84:87]// 000000004B4C: D3F30054 0D53F5AA
	buffer_load_dwordx4 a[44:47], v36, s[24:27], 0 offen offset:3072// 000000004B54: E05C1C00 80862C24
	v_mfma_f32_16x16x32_fp8_fp8 v[84:87], a[172:173], v[252:253], v[84:87]// 000000004B5C: D3F30054 0D53F9AC
	v_mfma_f32_16x16x32_fp8_fp8 v[84:87], a[174:175], v[254:255], v[84:87]// 000000004B64: D3F30054 0D53FDAE
	ds_read_b128 v[204:207], v2 offset:192                     // 000000004B6C: D9FE00C0 CC000002
	s_waitcnt vmcnt(28)                                        // 000000004B74: BF8C4F7C
	v_mfma_f32_16x16x32_fp8_fp8 v[88:91], a[176:177], v[224:225], v[88:91]// 000000004B78: D3F30058 0D63C1B0
	v_mfma_f32_16x16x32_fp8_fp8 v[88:91], a[178:179], v[226:227], v[88:91]// 000000004B80: D3F30058 0D63C5B2
	buffer_load_dwordx4 a[48:51], v37, s[24:27], 0 offen       // 000000004B88: E05C1000 80863025
	v_mfma_f32_16x16x32_fp8_fp8 v[88:91], a[180:181], v[228:229], v[88:91]// 000000004B90: D3F30058 0D63C9B4
	v_mfma_f32_16x16x32_fp8_fp8 v[88:91], a[182:183], v[230:231], v[88:91]// 000000004B98: D3F30058 0D63CDB6
	ds_read_b128 v[208:211], v2 offset:1024                    // 000000004BA0: D9FE0400 D0000002
	v_mfma_f32_16x16x32_fp8_fp8 v[88:91], a[184:185], v[232:233], v[88:91]// 000000004BA8: D3F30058 0D63D1B8
	v_mfma_f32_16x16x32_fp8_fp8 v[88:91], a[186:187], v[234:235], v[88:91]// 000000004BB0: D3F30058 0D63D5BA
	buffer_load_dwordx4 a[52:55], v37, s[24:27], 0 offen offset:1024// 000000004BB8: E05C1400 80863425
	v_mfma_f32_16x16x32_fp8_fp8 v[88:91], a[188:189], v[236:237], v[88:91]// 000000004BC0: D3F30058 0D63D9BC
	v_mfma_f32_16x16x32_fp8_fp8 v[88:91], a[190:191], v[238:239], v[88:91]// 000000004BC8: D3F30058 0D63DDBE
	ds_read_b128 v[212:215], v2 offset:1088                    // 000000004BD0: D9FE0440 D4000002
	v_mfma_f32_16x16x32_fp8_fp8 v[92:95], a[176:177], v[240:241], v[92:95]// 000000004BD8: D3F3005C 0D73E1B0
	v_mfma_f32_16x16x32_fp8_fp8 v[92:95], a[178:179], v[242:243], v[92:95]// 000000004BE0: D3F3005C 0D73E5B2
	buffer_load_dwordx4 a[56:59], v37, s[24:27], 0 offen offset:2048// 000000004BE8: E05C1800 80863825
	v_mfma_f32_16x16x32_fp8_fp8 v[92:95], a[180:181], v[244:245], v[92:95]// 000000004BF0: D3F3005C 0D73E9B4
	v_mfma_f32_16x16x32_fp8_fp8 v[92:95], a[182:183], v[246:247], v[92:95]// 000000004BF8: D3F3005C 0D73EDB6
	ds_read_b128 v[216:219], v2 offset:1152                    // 000000004C00: D9FE0480 D8000002
	v_mfma_f32_16x16x32_fp8_fp8 v[92:95], a[184:185], v[248:249], v[92:95]// 000000004C08: D3F3005C 0D73F1B8
	v_mfma_f32_16x16x32_fp8_fp8 v[92:95], a[186:187], v[250:251], v[92:95]// 000000004C10: D3F3005C 0D73F5BA
	buffer_load_dwordx4 a[60:63], v37, s[24:27], 0 offen offset:3072// 000000004C18: E05C1C00 80863C25
	v_mfma_f32_16x16x32_fp8_fp8 v[92:95], a[188:189], v[252:253], v[92:95]// 000000004C20: D3F3005C 0D73F9BC
	v_mfma_f32_16x16x32_fp8_fp8 v[92:95], a[190:191], v[254:255], v[92:95]// 000000004C28: D3F3005C 0D73FDBE
	ds_read_b128 v[220:223], v2 offset:1216                    // 000000004C30: D9FE04C0 DC000002
	s_waitcnt vmcnt(28)                                        // 000000004C38: BF8C4F7C
	v_mfma_f32_16x16x32_fp8_fp8 v[96:99], a[192:193], v[224:225], v[96:99]// 000000004C3C: D3F30060 0D83C1C0
	v_mfma_f32_16x16x32_fp8_fp8 v[96:99], a[194:195], v[226:227], v[96:99]// 000000004C44: D3F30060 0D83C5C2
	buffer_load_dwordx4 a[64:67], v38, s[24:27], 0 offen       // 000000004C4C: E05C1000 80864026
	v_mfma_f32_16x16x32_fp8_fp8 v[96:99], a[196:197], v[228:229], v[96:99]// 000000004C54: D3F30060 0D83C9C4
	v_mfma_f32_16x16x32_fp8_fp8 v[96:99], a[198:199], v[230:231], v[96:99]// 000000004C5C: D3F30060 0D83CDC6
	v_mfma_f32_16x16x32_fp8_fp8 v[96:99], a[200:201], v[232:233], v[96:99]// 000000004C64: D3F30060 0D83D1C8
	v_mfma_f32_16x16x32_fp8_fp8 v[96:99], a[202:203], v[234:235], v[96:99]// 000000004C6C: D3F30060 0D83D5CA
	buffer_load_dwordx4 a[68:71], v38, s[24:27], 0 offen offset:1024// 000000004C74: E05C1400 80864426
	v_mfma_f32_16x16x32_fp8_fp8 v[96:99], a[204:205], v[236:237], v[96:99]// 000000004C7C: D3F30060 0D83D9CC
	v_mfma_f32_16x16x32_fp8_fp8 v[96:99], a[206:207], v[238:239], v[96:99]// 000000004C84: D3F30060 0D83DDCE
	v_mfma_f32_16x16x32_fp8_fp8 v[100:103], a[192:193], v[240:241], v[100:103]// 000000004C8C: D3F30064 0D93E1C0
	v_mfma_f32_16x16x32_fp8_fp8 v[100:103], a[194:195], v[242:243], v[100:103]// 000000004C94: D3F30064 0D93E5C2
	buffer_load_dwordx4 a[72:75], v38, s[24:27], 0 offen offset:2048// 000000004C9C: E05C1800 80864826
	v_mfma_f32_16x16x32_fp8_fp8 v[100:103], a[196:197], v[244:245], v[100:103]// 000000004CA4: D3F30064 0D93E9C4
	v_mfma_f32_16x16x32_fp8_fp8 v[100:103], a[198:199], v[246:247], v[100:103]// 000000004CAC: D3F30064 0D93EDC6
	v_mfma_f32_16x16x32_fp8_fp8 v[100:103], a[200:201], v[248:249], v[100:103]// 000000004CB4: D3F30064 0D93F1C8
	v_mfma_f32_16x16x32_fp8_fp8 v[100:103], a[202:203], v[250:251], v[100:103]// 000000004CBC: D3F30064 0D93F5CA
	buffer_load_dwordx4 a[76:79], v38, s[24:27], 0 offen offset:3072// 000000004CC4: E05C1C00 80864C26
	v_mfma_f32_16x16x32_fp8_fp8 v[100:103], a[204:205], v[252:253], v[100:103]// 000000004CCC: D3F30064 0D93F9CC
	v_mfma_f32_16x16x32_fp8_fp8 v[100:103], a[206:207], v[254:255], v[100:103]// 000000004CD4: D3F30064 0D93FDCE
	s_waitcnt vmcnt(28)                                        // 000000004CDC: BF8C4F7C
	v_mfma_f32_16x16x32_fp8_fp8 v[104:107], a[208:209], v[224:225], v[104:107]// 000000004CE0: D3F30068 0DA3C1D0
	v_mfma_f32_16x16x32_fp8_fp8 v[104:107], a[210:211], v[226:227], v[104:107]// 000000004CE8: D3F30068 0DA3C5D2
	buffer_load_dwordx4 a[80:83], v39, s[24:27], 0 offen       // 000000004CF0: E05C1000 80865027
	v_mfma_f32_16x16x32_fp8_fp8 v[104:107], a[212:213], v[228:229], v[104:107]// 000000004CF8: D3F30068 0DA3C9D4
	v_mfma_f32_16x16x32_fp8_fp8 v[104:107], a[214:215], v[230:231], v[104:107]// 000000004D00: D3F30068 0DA3CDD6
	v_mfma_f32_16x16x32_fp8_fp8 v[104:107], a[216:217], v[232:233], v[104:107]// 000000004D08: D3F30068 0DA3D1D8
	v_mfma_f32_16x16x32_fp8_fp8 v[104:107], a[218:219], v[234:235], v[104:107]// 000000004D10: D3F30068 0DA3D5DA
	buffer_load_dwordx4 a[84:87], v39, s[24:27], 0 offen offset:1024// 000000004D18: E05C1400 80865427
	v_mfma_f32_16x16x32_fp8_fp8 v[104:107], a[220:221], v[236:237], v[104:107]// 000000004D20: D3F30068 0DA3D9DC
	v_mfma_f32_16x16x32_fp8_fp8 v[104:107], a[222:223], v[238:239], v[104:107]// 000000004D28: D3F30068 0DA3DDDE
	v_mfma_f32_16x16x32_fp8_fp8 v[108:111], a[208:209], v[240:241], v[108:111]// 000000004D30: D3F3006C 0DB3E1D0
	v_mfma_f32_16x16x32_fp8_fp8 v[108:111], a[210:211], v[242:243], v[108:111]// 000000004D38: D3F3006C 0DB3E5D2
	buffer_load_dwordx4 a[88:91], v39, s[24:27], 0 offen offset:2048// 000000004D40: E05C1800 80865827
	v_mfma_f32_16x16x32_fp8_fp8 v[108:111], a[212:213], v[244:245], v[108:111]// 000000004D48: D3F3006C 0DB3E9D4
	v_mfma_f32_16x16x32_fp8_fp8 v[108:111], a[214:215], v[246:247], v[108:111]// 000000004D50: D3F3006C 0DB3EDD6
	v_mfma_f32_16x16x32_fp8_fp8 v[108:111], a[216:217], v[248:249], v[108:111]// 000000004D58: D3F3006C 0DB3F1D8
	v_mfma_f32_16x16x32_fp8_fp8 v[108:111], a[218:219], v[250:251], v[108:111]// 000000004D60: D3F3006C 0DB3F5DA
	buffer_load_dwordx4 a[92:95], v39, s[24:27], 0 offen offset:3072// 000000004D68: E05C1C00 80865C27
	v_mfma_f32_16x16x32_fp8_fp8 v[108:111], a[220:221], v[252:253], v[108:111]// 000000004D70: D3F3006C 0DB3F9DC
	v_mfma_f32_16x16x32_fp8_fp8 v[108:111], a[222:223], v[254:255], v[108:111]// 000000004D78: D3F3006C 0DB3FDDE
	s_waitcnt vmcnt(28)                                        // 000000004D80: BF8C4F7C
	v_mfma_f32_16x16x32_fp8_fp8 v[112:115], a[224:225], v[224:225], v[112:115]// 000000004D84: D3F30070 0DC3C1E0
	v_mfma_f32_16x16x32_fp8_fp8 v[112:115], a[226:227], v[226:227], v[112:115]// 000000004D8C: D3F30070 0DC3C5E2
	buffer_load_dwordx4 a[96:99], v40, s[24:27], 0 offen       // 000000004D94: E05C1000 80866028
	v_mfma_f32_16x16x32_fp8_fp8 v[112:115], a[228:229], v[228:229], v[112:115]// 000000004D9C: D3F30070 0DC3C9E4
	v_mfma_f32_16x16x32_fp8_fp8 v[112:115], a[230:231], v[230:231], v[112:115]// 000000004DA4: D3F30070 0DC3CDE6
	v_mfma_f32_16x16x32_fp8_fp8 v[112:115], a[232:233], v[232:233], v[112:115]// 000000004DAC: D3F30070 0DC3D1E8
	v_mfma_f32_16x16x32_fp8_fp8 v[112:115], a[234:235], v[234:235], v[112:115]// 000000004DB4: D3F30070 0DC3D5EA
	buffer_load_dwordx4 a[100:103], v40, s[24:27], 0 offen offset:1024// 000000004DBC: E05C1400 80866428
	v_mfma_f32_16x16x32_fp8_fp8 v[112:115], a[236:237], v[236:237], v[112:115]// 000000004DC4: D3F30070 0DC3D9EC
	v_mfma_f32_16x16x32_fp8_fp8 v[112:115], a[238:239], v[238:239], v[112:115]// 000000004DCC: D3F30070 0DC3DDEE
	v_mfma_f32_16x16x32_fp8_fp8 v[116:119], a[224:225], v[240:241], v[116:119]// 000000004DD4: D3F30074 0DD3E1E0
	v_mfma_f32_16x16x32_fp8_fp8 v[116:119], a[226:227], v[242:243], v[116:119]// 000000004DDC: D3F30074 0DD3E5E2
	buffer_load_dwordx4 a[104:107], v40, s[24:27], 0 offen offset:2048// 000000004DE4: E05C1800 80866828
	v_mfma_f32_16x16x32_fp8_fp8 v[116:119], a[228:229], v[244:245], v[116:119]// 000000004DEC: D3F30074 0DD3E9E4
	v_mfma_f32_16x16x32_fp8_fp8 v[116:119], a[230:231], v[246:247], v[116:119]// 000000004DF4: D3F30074 0DD3EDE6
	v_mfma_f32_16x16x32_fp8_fp8 v[116:119], a[232:233], v[248:249], v[116:119]// 000000004DFC: D3F30074 0DD3F1E8
	v_mfma_f32_16x16x32_fp8_fp8 v[116:119], a[234:235], v[250:251], v[116:119]// 000000004E04: D3F30074 0DD3F5EA
	buffer_load_dwordx4 a[108:111], v40, s[24:27], 0 offen offset:3072// 000000004E0C: E05C1C00 80866C28
	v_mfma_f32_16x16x32_fp8_fp8 v[116:119], a[236:237], v[252:253], v[116:119]// 000000004E14: D3F30074 0DD3F9EC
	v_mfma_f32_16x16x32_fp8_fp8 v[116:119], a[238:239], v[254:255], v[116:119]// 000000004E1C: D3F30074 0DD3FDEE
	s_waitcnt vmcnt(28)                                        // 000000004E24: BF8C4F7C
	v_mfma_f32_16x16x32_fp8_fp8 v[120:123], a[240:241], v[224:225], v[120:123]// 000000004E28: D3F30078 0DE3C1F0
	v_mfma_f32_16x16x32_fp8_fp8 v[120:123], a[242:243], v[226:227], v[120:123]// 000000004E30: D3F30078 0DE3C5F2
	buffer_load_dwordx4 a[112:115], v41, s[24:27], 0 offen     // 000000004E38: E05C1000 80867029
	v_mfma_f32_16x16x32_fp8_fp8 v[120:123], a[244:245], v[228:229], v[120:123]// 000000004E40: D3F30078 0DE3C9F4
	v_mfma_f32_16x16x32_fp8_fp8 v[120:123], a[246:247], v[230:231], v[120:123]// 000000004E48: D3F30078 0DE3CDF6
	v_mfma_f32_16x16x32_fp8_fp8 v[120:123], a[248:249], v[232:233], v[120:123]// 000000004E50: D3F30078 0DE3D1F8
	v_mfma_f32_16x16x32_fp8_fp8 v[120:123], a[250:251], v[234:235], v[120:123]// 000000004E58: D3F30078 0DE3D5FA
	buffer_load_dwordx4 a[116:119], v41, s[24:27], 0 offen offset:1024// 000000004E60: E05C1400 80867429
	v_mfma_f32_16x16x32_fp8_fp8 v[120:123], a[252:253], v[236:237], v[120:123]// 000000004E68: D3F30078 0DE3D9FC
	v_mfma_f32_16x16x32_fp8_fp8 v[120:123], a[254:255], v[238:239], v[120:123]// 000000004E70: D3F30078 0DE3DDFE
	v_mfma_f32_16x16x32_fp8_fp8 v[124:127], a[240:241], v[240:241], v[124:127]// 000000004E78: D3F3007C 0DF3E1F0
	v_mfma_f32_16x16x32_fp8_fp8 v[124:127], a[242:243], v[242:243], v[124:127]// 000000004E80: D3F3007C 0DF3E5F2
	buffer_load_dwordx4 a[120:123], v41, s[24:27], 0 offen offset:2048// 000000004E88: E05C1800 80867829
	v_mfma_f32_16x16x32_fp8_fp8 v[124:127], a[244:245], v[244:245], v[124:127]// 000000004E90: D3F3007C 0DF3E9F4
	v_mfma_f32_16x16x32_fp8_fp8 v[124:127], a[246:247], v[246:247], v[124:127]// 000000004E98: D3F3007C 0DF3EDF6
	v_mfma_f32_16x16x32_fp8_fp8 v[124:127], a[248:249], v[248:249], v[124:127]// 000000004EA0: D3F3007C 0DF3F1F8
	v_mfma_f32_16x16x32_fp8_fp8 v[124:127], a[250:251], v[250:251], v[124:127]// 000000004EA8: D3F3007C 0DF3F5FA
	buffer_load_dwordx4 a[124:127], v41, s[24:27], 0 offen offset:3072// 000000004EB0: E05C1C00 80867C29
	v_mfma_f32_16x16x32_fp8_fp8 v[124:127], a[252:253], v[252:253], v[124:127]// 000000004EB8: D3F3007C 0DF3F9FC
	v_mfma_f32_16x16x32_fp8_fp8 v[124:127], a[254:255], v[254:255], v[124:127]// 000000004EC0: D3F3007C 0DF3FDFE
	s_add_u32 s60, 0x200, s80                                  // 000000004EC8: 803C50FF 00000200
	s_cmp_lt_u32 s60, s81                                      // 000000004ED0: BF0A513C
	s_cselect_b32 s57, s57, 0                                  // 000000004ED4: 85398039
	s_add_u32 s60, 0x200, s80                                  // 000000004ED8: 803C50FF 00000200
	s_cmp_lt_u32 s60, s81                                      // 000000004EE0: BF0A513C
	s_cselect_b32 s58, s58, 0                                  // 000000004EE4: 853A803A
	s_add_u32 s20, s57, s20                                    // 000000004EE8: 80141439
	s_addc_u32 s21, 0, s21                                     // 000000004EEC: 82151580
	s_add_u32 s24, s58, s24                                    // 000000004EF0: 8018183A
	s_addc_u32 s25, 0, s25                                     // 000000004EF4: 82191980
	s_add_u32 s92, s90, s92                                    // 000000004EF8: 805C5C5A
	s_addc_u32 s93, 0, s93                                     // 000000004EFC: 825D5D80
	s_addk_i32 s80, 0x100                                      // 000000004F00: B7500100
	s_cmp_lt_i32 s80, s81                                      // 000000004F04: BF045150
	s_cbranch_scc0 label_0844                                  // 000000004F08: BF840001
	s_branch label_02A3                                        // 000000004F0C: BF82FA5F

0000000000004f10 <label_0844>:
	s_mov_b32 s20, 0                                           // 000000004F10: BE940080
	s_cmp_lt_u32 s89, s66                                      // 000000004F14: BF0A4259
	s_cselect_b32 s60, 0, 1                                    // 000000004F18: 853C8180
	s_lshl1_add_u32 s20, s20, s60                              // 000000004F1C: 97143C14
	s_cmp_lt_u32 s88, s66                                      // 000000004F20: BF0A4258
	s_cselect_b32 s60, 0, 1                                    // 000000004F24: 853C8180
	s_lshl1_add_u32 s20, s20, s60                              // 000000004F28: 97143C14
	s_cmp_lt_u32 s87, s66                                      // 000000004F2C: BF0A4257
	s_cselect_b32 s60, 0, 1                                    // 000000004F30: 853C8180
	s_lshl1_add_u32 s20, s20, s60                              // 000000004F34: 97143C14
	s_cmp_lt_u32 s86, s66                                      // 000000004F38: BF0A4256
	s_cselect_b32 s60, 0, 1                                    // 000000004F3C: 853C8180
	s_lshl1_add_u32 s20, s20, s60                              // 000000004F40: 97143C14
	s_cmp_lt_u32 s85, s66                                      // 000000004F44: BF0A4255
	s_cselect_b32 s60, 0, 1                                    // 000000004F48: 853C8180
	s_lshl1_add_u32 s20, s20, s60                              // 000000004F4C: 97143C14
	s_cmp_lt_u32 s84, s66                                      // 000000004F50: BF0A4254
	s_cselect_b32 s60, 0, 1                                    // 000000004F54: 853C8180
	s_lshl1_add_u32 s20, s20, s60                              // 000000004F58: 97143C14
	s_cmp_lt_u32 s83, s66                                      // 000000004F5C: BF0A4253
	s_cselect_b32 s60, 0, 1                                    // 000000004F60: 853C8180
	s_lshl1_add_u32 s20, s20, s60                              // 000000004F64: 97143C14
	s_cmp_lt_u32 s82, s66                                      // 000000004F68: BF0A4252
	s_cselect_b32 s60, 0, 1                                    // 000000004F6C: 853C8180
	s_lshl1_add_u32 s20, s20, s60                              // 000000004F70: 97143C14
	v_mul_f32_e32 v128, v14, v128                              // 000000004F74: 0B01010E
	v_mul_f32_e32 v129, v14, v129                              // 000000004F78: 0B03030E
	v_mul_f32_e32 v130, v14, v130                              // 000000004F7C: 0B05050E
	v_mul_f32_e32 v131, v14, v131                              // 000000004F80: 0B07070E
	v_mul_f32_dpp v128, v16, v128 row_newbcast:0 row_mask:0xf bank_mask:0xf// 000000004F84: 0B0100FA FF015010
	v_mul_f32_dpp v129, v16, v129 row_newbcast:1 row_mask:0xf bank_mask:0xf// 000000004F8C: 0B0302FA FF015110
	v_mul_f32_dpp v130, v16, v130 row_newbcast:2 row_mask:0xf bank_mask:0xf// 000000004F94: 0B0504FA FF015210
	v_mul_f32_dpp v131, v16, v131 row_newbcast:3 row_mask:0xf bank_mask:0xf// 000000004F9C: 0B0706FA FF015310
	v_mul_f32_e32 v132, v15, v132                              // 000000004FA4: 0B09090F
	v_mul_f32_e32 v133, v15, v133                              // 000000004FA8: 0B0B0B0F
	v_mul_f32_e32 v134, v15, v134                              // 000000004FAC: 0B0D0D0F
	v_mul_f32_e32 v135, v15, v135                              // 000000004FB0: 0B0F0F0F
	v_mul_f32_dpp v132, v16, v132 row_newbcast:0 row_mask:0xf bank_mask:0xf// 000000004FB4: 0B0908FA FF015010
	v_mul_f32_dpp v133, v16, v133 row_newbcast:1 row_mask:0xf bank_mask:0xf// 000000004FBC: 0B0B0AFA FF015110
	v_mul_f32_dpp v134, v16, v134 row_newbcast:2 row_mask:0xf bank_mask:0xf// 000000004FC4: 0B0D0CFA FF015210
	v_mul_f32_dpp v135, v16, v135 row_newbcast:3 row_mask:0xf bank_mask:0xf// 000000004FCC: 0B0F0EFA FF015310
	v_mul_f32_e32 v136, v14, v136                              // 000000004FD4: 0B11110E
	v_mul_f32_e32 v137, v14, v137                              // 000000004FD8: 0B13130E
	v_mul_f32_e32 v138, v14, v138                              // 000000004FDC: 0B15150E
	v_mul_f32_e32 v139, v14, v139                              // 000000004FE0: 0B17170E
	v_mul_f32_dpp v136, v16, v136 row_newbcast:4 row_mask:0xf bank_mask:0xf// 000000004FE4: 0B1110FA FF015410
	v_mul_f32_dpp v137, v16, v137 row_newbcast:5 row_mask:0xf bank_mask:0xf// 000000004FEC: 0B1312FA FF015510
	v_mul_f32_dpp v138, v16, v138 row_newbcast:6 row_mask:0xf bank_mask:0xf// 000000004FF4: 0B1514FA FF015610
	v_mul_f32_dpp v139, v16, v139 row_newbcast:7 row_mask:0xf bank_mask:0xf// 000000004FFC: 0B1716FA FF015710
	v_mul_f32_e32 v140, v15, v140                              // 000000005004: 0B19190F
	v_mul_f32_e32 v141, v15, v141                              // 000000005008: 0B1B1B0F
	v_mul_f32_e32 v142, v15, v142                              // 00000000500C: 0B1D1D0F
	v_mul_f32_e32 v143, v15, v143                              // 000000005010: 0B1F1F0F
	v_mul_f32_dpp v140, v16, v140 row_newbcast:4 row_mask:0xf bank_mask:0xf// 000000005014: 0B1918FA FF015410
	v_mul_f32_dpp v141, v16, v141 row_newbcast:5 row_mask:0xf bank_mask:0xf// 00000000501C: 0B1B1AFA FF015510
	v_mul_f32_dpp v142, v16, v142 row_newbcast:6 row_mask:0xf bank_mask:0xf// 000000005024: 0B1D1CFA FF015610
	v_mul_f32_dpp v143, v16, v143 row_newbcast:7 row_mask:0xf bank_mask:0xf// 00000000502C: 0B1F1EFA FF015710
	v_mul_f32_e32 v144, v14, v144                              // 000000005034: 0B21210E
	v_mul_f32_e32 v145, v14, v145                              // 000000005038: 0B23230E
	v_mul_f32_e32 v146, v14, v146                              // 00000000503C: 0B25250E
	v_mul_f32_e32 v147, v14, v147                              // 000000005040: 0B27270E
	v_mul_f32_dpp v144, v16, v144 row_newbcast:8 row_mask:0xf bank_mask:0xf// 000000005044: 0B2120FA FF015810
	v_mul_f32_dpp v145, v16, v145 row_newbcast:9 row_mask:0xf bank_mask:0xf// 00000000504C: 0B2322FA FF015910
	v_mul_f32_dpp v146, v16, v146 row_newbcast:10 row_mask:0xf bank_mask:0xf// 000000005054: 0B2524FA FF015A10
	v_mul_f32_dpp v147, v16, v147 row_newbcast:11 row_mask:0xf bank_mask:0xf// 00000000505C: 0B2726FA FF015B10
	v_mul_f32_e32 v148, v15, v148                              // 000000005064: 0B29290F
	v_mul_f32_e32 v149, v15, v149                              // 000000005068: 0B2B2B0F
	v_mul_f32_e32 v150, v15, v150                              // 00000000506C: 0B2D2D0F
	v_mul_f32_e32 v151, v15, v151                              // 000000005070: 0B2F2F0F
	v_mul_f32_dpp v148, v16, v148 row_newbcast:8 row_mask:0xf bank_mask:0xf// 000000005074: 0B2928FA FF015810
	v_mul_f32_dpp v149, v16, v149 row_newbcast:9 row_mask:0xf bank_mask:0xf// 00000000507C: 0B2B2AFA FF015910
	v_mul_f32_dpp v150, v16, v150 row_newbcast:10 row_mask:0xf bank_mask:0xf// 000000005084: 0B2D2CFA FF015A10
	v_mul_f32_dpp v151, v16, v151 row_newbcast:11 row_mask:0xf bank_mask:0xf// 00000000508C: 0B2F2EFA FF015B10
	v_mul_f32_e32 v152, v14, v152                              // 000000005094: 0B31310E
	v_mul_f32_e32 v153, v14, v153                              // 000000005098: 0B33330E
	v_mul_f32_e32 v154, v14, v154                              // 00000000509C: 0B35350E
	v_mul_f32_e32 v155, v14, v155                              // 0000000050A0: 0B37370E
	v_mul_f32_dpp v152, v16, v152 row_newbcast:12 row_mask:0xf bank_mask:0xf// 0000000050A4: 0B3130FA FF015C10
	v_mul_f32_dpp v153, v16, v153 row_newbcast:13 row_mask:0xf bank_mask:0xf// 0000000050AC: 0B3332FA FF015D10
	v_mul_f32_dpp v154, v16, v154 row_newbcast:14 row_mask:0xf bank_mask:0xf// 0000000050B4: 0B3534FA FF015E10
	v_mul_f32_dpp v155, v16, v155 row_newbcast:15 row_mask:0xf bank_mask:0xf// 0000000050BC: 0B3736FA FF015F10
	v_mul_f32_e32 v156, v15, v156                              // 0000000050C4: 0B39390F
	v_mul_f32_e32 v157, v15, v157                              // 0000000050C8: 0B3B3B0F
	v_mul_f32_e32 v158, v15, v158                              // 0000000050CC: 0B3D3D0F
	v_mul_f32_e32 v159, v15, v159                              // 0000000050D0: 0B3F3F0F
	v_mul_f32_dpp v156, v16, v156 row_newbcast:12 row_mask:0xf bank_mask:0xf// 0000000050D4: 0B3938FA FF015C10
	v_mul_f32_dpp v157, v16, v157 row_newbcast:13 row_mask:0xf bank_mask:0xf// 0000000050DC: 0B3B3AFA FF015D10
	v_mul_f32_dpp v158, v16, v158 row_newbcast:14 row_mask:0xf bank_mask:0xf// 0000000050E4: 0B3D3CFA FF015E10
	v_mul_f32_dpp v159, v16, v159 row_newbcast:15 row_mask:0xf bank_mask:0xf// 0000000050EC: 0B3F3EFA FF015F10
	v_mul_f32_e32 v160, v14, v160                              // 0000000050F4: 0B41410E
	v_mul_f32_e32 v161, v14, v161                              // 0000000050F8: 0B43430E
	v_mul_f32_e32 v162, v14, v162                              // 0000000050FC: 0B45450E
	v_mul_f32_e32 v163, v14, v163                              // 000000005100: 0B47470E
	v_mul_f32_dpp v160, v17, v160 row_newbcast:0 row_mask:0xf bank_mask:0xf// 000000005104: 0B4140FA FF015011
	v_mul_f32_dpp v161, v17, v161 row_newbcast:1 row_mask:0xf bank_mask:0xf// 00000000510C: 0B4342FA FF015111
	v_mul_f32_dpp v162, v17, v162 row_newbcast:2 row_mask:0xf bank_mask:0xf// 000000005114: 0B4544FA FF015211
	v_mul_f32_dpp v163, v17, v163 row_newbcast:3 row_mask:0xf bank_mask:0xf// 00000000511C: 0B4746FA FF015311
	v_mul_f32_e32 v164, v15, v164                              // 000000005124: 0B49490F
	v_mul_f32_e32 v165, v15, v165                              // 000000005128: 0B4B4B0F
	v_mul_f32_e32 v166, v15, v166                              // 00000000512C: 0B4D4D0F
	v_mul_f32_e32 v167, v15, v167                              // 000000005130: 0B4F4F0F
	v_mul_f32_dpp v164, v17, v164 row_newbcast:0 row_mask:0xf bank_mask:0xf// 000000005134: 0B4948FA FF015011
	v_mul_f32_dpp v165, v17, v165 row_newbcast:1 row_mask:0xf bank_mask:0xf// 00000000513C: 0B4B4AFA FF015111
	v_mul_f32_dpp v166, v17, v166 row_newbcast:2 row_mask:0xf bank_mask:0xf// 000000005144: 0B4D4CFA FF015211
	v_mul_f32_dpp v167, v17, v167 row_newbcast:3 row_mask:0xf bank_mask:0xf// 00000000514C: 0B4F4EFA FF015311
	v_mul_f32_e32 v168, v14, v168                              // 000000005154: 0B51510E
	v_mul_f32_e32 v169, v14, v169                              // 000000005158: 0B53530E
	v_mul_f32_e32 v170, v14, v170                              // 00000000515C: 0B55550E
	v_mul_f32_e32 v171, v14, v171                              // 000000005160: 0B57570E
	v_mul_f32_dpp v168, v17, v168 row_newbcast:4 row_mask:0xf bank_mask:0xf// 000000005164: 0B5150FA FF015411
	v_mul_f32_dpp v169, v17, v169 row_newbcast:5 row_mask:0xf bank_mask:0xf// 00000000516C: 0B5352FA FF015511
	v_mul_f32_dpp v170, v17, v170 row_newbcast:6 row_mask:0xf bank_mask:0xf// 000000005174: 0B5554FA FF015611
	v_mul_f32_dpp v171, v17, v171 row_newbcast:7 row_mask:0xf bank_mask:0xf// 00000000517C: 0B5756FA FF015711
	v_mul_f32_e32 v172, v15, v172                              // 000000005184: 0B59590F
	v_mul_f32_e32 v173, v15, v173                              // 000000005188: 0B5B5B0F
	v_mul_f32_e32 v174, v15, v174                              // 00000000518C: 0B5D5D0F
	v_mul_f32_e32 v175, v15, v175                              // 000000005190: 0B5F5F0F
	v_mul_f32_dpp v172, v17, v172 row_newbcast:4 row_mask:0xf bank_mask:0xf// 000000005194: 0B5958FA FF015411
	v_mul_f32_dpp v173, v17, v173 row_newbcast:5 row_mask:0xf bank_mask:0xf// 00000000519C: 0B5B5AFA FF015511
	v_mul_f32_dpp v174, v17, v174 row_newbcast:6 row_mask:0xf bank_mask:0xf// 0000000051A4: 0B5D5CFA FF015611
	v_mul_f32_dpp v175, v17, v175 row_newbcast:7 row_mask:0xf bank_mask:0xf// 0000000051AC: 0B5F5EFA FF015711
	v_mul_f32_e32 v176, v14, v176                              // 0000000051B4: 0B61610E
	v_mul_f32_e32 v177, v14, v177                              // 0000000051B8: 0B63630E
	v_mul_f32_e32 v178, v14, v178                              // 0000000051BC: 0B65650E
	v_mul_f32_e32 v179, v14, v179                              // 0000000051C0: 0B67670E
	v_mul_f32_dpp v176, v17, v176 row_newbcast:8 row_mask:0xf bank_mask:0xf// 0000000051C4: 0B6160FA FF015811
	v_mul_f32_dpp v177, v17, v177 row_newbcast:9 row_mask:0xf bank_mask:0xf// 0000000051CC: 0B6362FA FF015911
	v_mul_f32_dpp v178, v17, v178 row_newbcast:10 row_mask:0xf bank_mask:0xf// 0000000051D4: 0B6564FA FF015A11
	v_mul_f32_dpp v179, v17, v179 row_newbcast:11 row_mask:0xf bank_mask:0xf// 0000000051DC: 0B6766FA FF015B11
	v_mul_f32_e32 v180, v15, v180                              // 0000000051E4: 0B69690F
	v_mul_f32_e32 v181, v15, v181                              // 0000000051E8: 0B6B6B0F
	v_mul_f32_e32 v182, v15, v182                              // 0000000051EC: 0B6D6D0F
	v_mul_f32_e32 v183, v15, v183                              // 0000000051F0: 0B6F6F0F
	v_mul_f32_dpp v180, v17, v180 row_newbcast:8 row_mask:0xf bank_mask:0xf// 0000000051F4: 0B6968FA FF015811
	v_mul_f32_dpp v181, v17, v181 row_newbcast:9 row_mask:0xf bank_mask:0xf// 0000000051FC: 0B6B6AFA FF015911
	v_mul_f32_dpp v182, v17, v182 row_newbcast:10 row_mask:0xf bank_mask:0xf// 000000005204: 0B6D6CFA FF015A11
	v_mul_f32_dpp v183, v17, v183 row_newbcast:11 row_mask:0xf bank_mask:0xf// 00000000520C: 0B6F6EFA FF015B11
	v_mul_f32_e32 v184, v14, v184                              // 000000005214: 0B71710E
	v_mul_f32_e32 v185, v14, v185                              // 000000005218: 0B73730E
	v_mul_f32_e32 v186, v14, v186                              // 00000000521C: 0B75750E
	v_mul_f32_e32 v187, v14, v187                              // 000000005220: 0B77770E
	v_mul_f32_dpp v184, v17, v184 row_newbcast:12 row_mask:0xf bank_mask:0xf// 000000005224: 0B7170FA FF015C11
	v_mul_f32_dpp v185, v17, v185 row_newbcast:13 row_mask:0xf bank_mask:0xf// 00000000522C: 0B7372FA FF015D11
	v_mul_f32_dpp v186, v17, v186 row_newbcast:14 row_mask:0xf bank_mask:0xf// 000000005234: 0B7574FA FF015E11
	v_mul_f32_dpp v187, v17, v187 row_newbcast:15 row_mask:0xf bank_mask:0xf// 00000000523C: 0B7776FA FF015F11
	v_mul_f32_e32 v188, v15, v188                              // 000000005244: 0B79790F
	v_mul_f32_e32 v189, v15, v189                              // 000000005248: 0B7B7B0F
	v_mul_f32_e32 v190, v15, v190                              // 00000000524C: 0B7D7D0F
	v_mul_f32_e32 v191, v15, v191                              // 000000005250: 0B7F7F0F
	v_mul_f32_dpp v188, v17, v188 row_newbcast:12 row_mask:0xf bank_mask:0xf// 000000005254: 0B7978FA FF015C11
	v_mul_f32_dpp v189, v17, v189 row_newbcast:13 row_mask:0xf bank_mask:0xf// 00000000525C: 0B7B7AFA FF015D11
	v_mul_f32_dpp v190, v17, v190 row_newbcast:14 row_mask:0xf bank_mask:0xf// 000000005264: 0B7D7CFA FF015E11
	v_mul_f32_dpp v191, v17, v191 row_newbcast:15 row_mask:0xf bank_mask:0xf// 00000000526C: 0B7F7EFA FF015F11
	v_mul_f32_e32 v64, v14, v64                                // 000000005274: 0A80810E
	v_mul_f32_e32 v65, v14, v65                                // 000000005278: 0A82830E
	v_mul_f32_e32 v66, v14, v66                                // 00000000527C: 0A84850E
	v_mul_f32_e32 v67, v14, v67                                // 000000005280: 0A86870E
	v_mul_f32_dpp v64, v50, v64 row_newbcast:0 row_mask:0xf bank_mask:0xf// 000000005284: 0A8080FA FF015032
	v_mul_f32_dpp v65, v50, v65 row_newbcast:1 row_mask:0xf bank_mask:0xf// 00000000528C: 0A8282FA FF015132
	v_mul_f32_dpp v66, v50, v66 row_newbcast:2 row_mask:0xf bank_mask:0xf// 000000005294: 0A8484FA FF015232
	v_mul_f32_dpp v67, v50, v67 row_newbcast:3 row_mask:0xf bank_mask:0xf// 00000000529C: 0A8686FA FF015332
	v_mul_f32_e32 v68, v15, v68                                // 0000000052A4: 0A88890F
	v_mul_f32_e32 v69, v15, v69                                // 0000000052A8: 0A8A8B0F
	v_mul_f32_e32 v70, v15, v70                                // 0000000052AC: 0A8C8D0F
	v_mul_f32_e32 v71, v15, v71                                // 0000000052B0: 0A8E8F0F
	v_mul_f32_dpp v68, v50, v68 row_newbcast:0 row_mask:0xf bank_mask:0xf// 0000000052B4: 0A8888FA FF015032
	v_mul_f32_dpp v69, v50, v69 row_newbcast:1 row_mask:0xf bank_mask:0xf// 0000000052BC: 0A8A8AFA FF015132
	v_mul_f32_dpp v70, v50, v70 row_newbcast:2 row_mask:0xf bank_mask:0xf// 0000000052C4: 0A8C8CFA FF015232
	v_mul_f32_dpp v71, v50, v71 row_newbcast:3 row_mask:0xf bank_mask:0xf// 0000000052CC: 0A8E8EFA FF015332
	v_mul_f32_e32 v72, v14, v72                                // 0000000052D4: 0A90910E
	v_mul_f32_e32 v73, v14, v73                                // 0000000052D8: 0A92930E
	v_mul_f32_e32 v74, v14, v74                                // 0000000052DC: 0A94950E
	v_mul_f32_e32 v75, v14, v75                                // 0000000052E0: 0A96970E
	v_mul_f32_dpp v72, v50, v72 row_newbcast:4 row_mask:0xf bank_mask:0xf// 0000000052E4: 0A9090FA FF015432
	v_mul_f32_dpp v73, v50, v73 row_newbcast:5 row_mask:0xf bank_mask:0xf// 0000000052EC: 0A9292FA FF015532
	v_mul_f32_dpp v74, v50, v74 row_newbcast:6 row_mask:0xf bank_mask:0xf// 0000000052F4: 0A9494FA FF015632
	v_mul_f32_dpp v75, v50, v75 row_newbcast:7 row_mask:0xf bank_mask:0xf// 0000000052FC: 0A9696FA FF015732
	v_mul_f32_e32 v76, v15, v76                                // 000000005304: 0A98990F
	v_mul_f32_e32 v77, v15, v77                                // 000000005308: 0A9A9B0F
	v_mul_f32_e32 v78, v15, v78                                // 00000000530C: 0A9C9D0F
	v_mul_f32_e32 v79, v15, v79                                // 000000005310: 0A9E9F0F
	v_mul_f32_dpp v76, v50, v76 row_newbcast:4 row_mask:0xf bank_mask:0xf// 000000005314: 0A9898FA FF015432
	v_mul_f32_dpp v77, v50, v77 row_newbcast:5 row_mask:0xf bank_mask:0xf// 00000000531C: 0A9A9AFA FF015532
	v_mul_f32_dpp v78, v50, v78 row_newbcast:6 row_mask:0xf bank_mask:0xf// 000000005324: 0A9C9CFA FF015632
	v_mul_f32_dpp v79, v50, v79 row_newbcast:7 row_mask:0xf bank_mask:0xf// 00000000532C: 0A9E9EFA FF015732
	v_mul_f32_e32 v80, v14, v80                                // 000000005334: 0AA0A10E
	v_mul_f32_e32 v81, v14, v81                                // 000000005338: 0AA2A30E
	v_mul_f32_e32 v82, v14, v82                                // 00000000533C: 0AA4A50E
	v_mul_f32_e32 v83, v14, v83                                // 000000005340: 0AA6A70E
	v_mul_f32_dpp v80, v50, v80 row_newbcast:8 row_mask:0xf bank_mask:0xf// 000000005344: 0AA0A0FA FF015832
	v_mul_f32_dpp v81, v50, v81 row_newbcast:9 row_mask:0xf bank_mask:0xf// 00000000534C: 0AA2A2FA FF015932
	v_mul_f32_dpp v82, v50, v82 row_newbcast:10 row_mask:0xf bank_mask:0xf// 000000005354: 0AA4A4FA FF015A32
	v_mul_f32_dpp v83, v50, v83 row_newbcast:11 row_mask:0xf bank_mask:0xf// 00000000535C: 0AA6A6FA FF015B32
	v_mul_f32_e32 v84, v15, v84                                // 000000005364: 0AA8A90F
	v_mul_f32_e32 v85, v15, v85                                // 000000005368: 0AAAAB0F
	v_mul_f32_e32 v86, v15, v86                                // 00000000536C: 0AACAD0F
	v_mul_f32_e32 v87, v15, v87                                // 000000005370: 0AAEAF0F
	v_mul_f32_dpp v84, v50, v84 row_newbcast:8 row_mask:0xf bank_mask:0xf// 000000005374: 0AA8A8FA FF015832
	v_mul_f32_dpp v85, v50, v85 row_newbcast:9 row_mask:0xf bank_mask:0xf// 00000000537C: 0AAAAAFA FF015932
	v_mul_f32_dpp v86, v50, v86 row_newbcast:10 row_mask:0xf bank_mask:0xf// 000000005384: 0AACACFA FF015A32
	v_mul_f32_dpp v87, v50, v87 row_newbcast:11 row_mask:0xf bank_mask:0xf// 00000000538C: 0AAEAEFA FF015B32
	v_mul_f32_e32 v88, v14, v88                                // 000000005394: 0AB0B10E
	v_mul_f32_e32 v89, v14, v89                                // 000000005398: 0AB2B30E
	v_mul_f32_e32 v90, v14, v90                                // 00000000539C: 0AB4B50E
	v_mul_f32_e32 v91, v14, v91                                // 0000000053A0: 0AB6B70E
	v_mul_f32_dpp v88, v50, v88 row_newbcast:12 row_mask:0xf bank_mask:0xf// 0000000053A4: 0AB0B0FA FF015C32
	v_mul_f32_dpp v89, v50, v89 row_newbcast:13 row_mask:0xf bank_mask:0xf// 0000000053AC: 0AB2B2FA FF015D32
	v_mul_f32_dpp v90, v50, v90 row_newbcast:14 row_mask:0xf bank_mask:0xf// 0000000053B4: 0AB4B4FA FF015E32
	v_mul_f32_dpp v91, v50, v91 row_newbcast:15 row_mask:0xf bank_mask:0xf// 0000000053BC: 0AB6B6FA FF015F32
	v_mul_f32_e32 v92, v15, v92                                // 0000000053C4: 0AB8B90F
	v_mul_f32_e32 v93, v15, v93                                // 0000000053C8: 0ABABB0F
	v_mul_f32_e32 v94, v15, v94                                // 0000000053CC: 0ABCBD0F
	v_mul_f32_e32 v95, v15, v95                                // 0000000053D0: 0ABEBF0F
	v_mul_f32_dpp v92, v50, v92 row_newbcast:12 row_mask:0xf bank_mask:0xf// 0000000053D4: 0AB8B8FA FF015C32
	v_mul_f32_dpp v93, v50, v93 row_newbcast:13 row_mask:0xf bank_mask:0xf// 0000000053DC: 0ABABAFA FF015D32
	v_mul_f32_dpp v94, v50, v94 row_newbcast:14 row_mask:0xf bank_mask:0xf// 0000000053E4: 0ABCBCFA FF015E32
	v_mul_f32_dpp v95, v50, v95 row_newbcast:15 row_mask:0xf bank_mask:0xf// 0000000053EC: 0ABEBEFA FF015F32
	v_mul_f32_e32 v96, v14, v96                                // 0000000053F4: 0AC0C10E
	v_mul_f32_e32 v97, v14, v97                                // 0000000053F8: 0AC2C30E
	v_mul_f32_e32 v98, v14, v98                                // 0000000053FC: 0AC4C50E
	v_mul_f32_e32 v99, v14, v99                                // 000000005400: 0AC6C70E
	v_mul_f32_dpp v96, v51, v96 row_newbcast:0 row_mask:0xf bank_mask:0xf// 000000005404: 0AC0C0FA FF015033
	v_mul_f32_dpp v97, v51, v97 row_newbcast:1 row_mask:0xf bank_mask:0xf// 00000000540C: 0AC2C2FA FF015133
	v_mul_f32_dpp v98, v51, v98 row_newbcast:2 row_mask:0xf bank_mask:0xf// 000000005414: 0AC4C4FA FF015233
	v_mul_f32_dpp v99, v51, v99 row_newbcast:3 row_mask:0xf bank_mask:0xf// 00000000541C: 0AC6C6FA FF015333
	v_mul_f32_e32 v100, v15, v100                              // 000000005424: 0AC8C90F
	v_mul_f32_e32 v101, v15, v101                              // 000000005428: 0ACACB0F
	v_mul_f32_e32 v102, v15, v102                              // 00000000542C: 0ACCCD0F
	v_mul_f32_e32 v103, v15, v103                              // 000000005430: 0ACECF0F
	v_mul_f32_dpp v100, v51, v100 row_newbcast:0 row_mask:0xf bank_mask:0xf// 000000005434: 0AC8C8FA FF015033
	v_mul_f32_dpp v101, v51, v101 row_newbcast:1 row_mask:0xf bank_mask:0xf// 00000000543C: 0ACACAFA FF015133
	v_mul_f32_dpp v102, v51, v102 row_newbcast:2 row_mask:0xf bank_mask:0xf// 000000005444: 0ACCCCFA FF015233
	v_mul_f32_dpp v103, v51, v103 row_newbcast:3 row_mask:0xf bank_mask:0xf// 00000000544C: 0ACECEFA FF015333
	v_mul_f32_e32 v104, v14, v104                              // 000000005454: 0AD0D10E
	v_mul_f32_e32 v105, v14, v105                              // 000000005458: 0AD2D30E
	v_mul_f32_e32 v106, v14, v106                              // 00000000545C: 0AD4D50E
	v_mul_f32_e32 v107, v14, v107                              // 000000005460: 0AD6D70E
	v_mul_f32_dpp v104, v51, v104 row_newbcast:4 row_mask:0xf bank_mask:0xf// 000000005464: 0AD0D0FA FF015433
	v_mul_f32_dpp v105, v51, v105 row_newbcast:5 row_mask:0xf bank_mask:0xf// 00000000546C: 0AD2D2FA FF015533
	v_mul_f32_dpp v106, v51, v106 row_newbcast:6 row_mask:0xf bank_mask:0xf// 000000005474: 0AD4D4FA FF015633
	v_mul_f32_dpp v107, v51, v107 row_newbcast:7 row_mask:0xf bank_mask:0xf// 00000000547C: 0AD6D6FA FF015733
	v_mul_f32_e32 v108, v15, v108                              // 000000005484: 0AD8D90F
	v_mul_f32_e32 v109, v15, v109                              // 000000005488: 0ADADB0F
	v_mul_f32_e32 v110, v15, v110                              // 00000000548C: 0ADCDD0F
	v_mul_f32_e32 v111, v15, v111                              // 000000005490: 0ADEDF0F
	v_mul_f32_dpp v108, v51, v108 row_newbcast:4 row_mask:0xf bank_mask:0xf// 000000005494: 0AD8D8FA FF015433
	v_mul_f32_dpp v109, v51, v109 row_newbcast:5 row_mask:0xf bank_mask:0xf// 00000000549C: 0ADADAFA FF015533
	v_mul_f32_dpp v110, v51, v110 row_newbcast:6 row_mask:0xf bank_mask:0xf// 0000000054A4: 0ADCDCFA FF015633
	v_mul_f32_dpp v111, v51, v111 row_newbcast:7 row_mask:0xf bank_mask:0xf// 0000000054AC: 0ADEDEFA FF015733
	v_mul_f32_e32 v112, v14, v112                              // 0000000054B4: 0AE0E10E
	v_mul_f32_e32 v113, v14, v113                              // 0000000054B8: 0AE2E30E
	v_mul_f32_e32 v114, v14, v114                              // 0000000054BC: 0AE4E50E
	v_mul_f32_e32 v115, v14, v115                              // 0000000054C0: 0AE6E70E
	v_mul_f32_dpp v112, v51, v112 row_newbcast:8 row_mask:0xf bank_mask:0xf// 0000000054C4: 0AE0E0FA FF015833
	v_mul_f32_dpp v113, v51, v113 row_newbcast:9 row_mask:0xf bank_mask:0xf// 0000000054CC: 0AE2E2FA FF015933
	v_mul_f32_dpp v114, v51, v114 row_newbcast:10 row_mask:0xf bank_mask:0xf// 0000000054D4: 0AE4E4FA FF015A33
	v_mul_f32_dpp v115, v51, v115 row_newbcast:11 row_mask:0xf bank_mask:0xf// 0000000054DC: 0AE6E6FA FF015B33
	v_mul_f32_e32 v116, v15, v116                              // 0000000054E4: 0AE8E90F
	v_mul_f32_e32 v117, v15, v117                              // 0000000054E8: 0AEAEB0F
	v_mul_f32_e32 v118, v15, v118                              // 0000000054EC: 0AECED0F
	v_mul_f32_e32 v119, v15, v119                              // 0000000054F0: 0AEEEF0F
	v_mul_f32_dpp v116, v51, v116 row_newbcast:8 row_mask:0xf bank_mask:0xf// 0000000054F4: 0AE8E8FA FF015833
	v_mul_f32_dpp v117, v51, v117 row_newbcast:9 row_mask:0xf bank_mask:0xf// 0000000054FC: 0AEAEAFA FF015933
	v_mul_f32_dpp v118, v51, v118 row_newbcast:10 row_mask:0xf bank_mask:0xf// 000000005504: 0AECECFA FF015A33
	v_mul_f32_dpp v119, v51, v119 row_newbcast:11 row_mask:0xf bank_mask:0xf// 00000000550C: 0AEEEEFA FF015B33
	v_mul_f32_e32 v120, v14, v120                              // 000000005514: 0AF0F10E
	v_mul_f32_e32 v121, v14, v121                              // 000000005518: 0AF2F30E
	v_mul_f32_e32 v122, v14, v122                              // 00000000551C: 0AF4F50E
	v_mul_f32_e32 v123, v14, v123                              // 000000005520: 0AF6F70E
	v_mul_f32_dpp v120, v51, v120 row_newbcast:12 row_mask:0xf bank_mask:0xf// 000000005524: 0AF0F0FA FF015C33
	v_mul_f32_dpp v121, v51, v121 row_newbcast:13 row_mask:0xf bank_mask:0xf// 00000000552C: 0AF2F2FA FF015D33
	v_mul_f32_dpp v122, v51, v122 row_newbcast:14 row_mask:0xf bank_mask:0xf// 000000005534: 0AF4F4FA FF015E33
	v_mul_f32_dpp v123, v51, v123 row_newbcast:15 row_mask:0xf bank_mask:0xf// 00000000553C: 0AF6F6FA FF015F33
	v_mul_f32_e32 v124, v15, v124                              // 000000005544: 0AF8F90F
	v_mul_f32_e32 v125, v15, v125                              // 000000005548: 0AFAFB0F
	v_mul_f32_e32 v126, v15, v126                              // 00000000554C: 0AFCFD0F
	v_mul_f32_e32 v127, v15, v127                              // 000000005550: 0AFEFF0F
	v_mul_f32_dpp v124, v51, v124 row_newbcast:12 row_mask:0xf bank_mask:0xf// 000000005554: 0AF8F8FA FF015C33
	v_mul_f32_dpp v125, v51, v125 row_newbcast:13 row_mask:0xf bank_mask:0xf// 00000000555C: 0AFAFAFA FF015D33
	v_mul_f32_dpp v126, v51, v126 row_newbcast:14 row_mask:0xf bank_mask:0xf// 000000005564: 0AFCFCFA FF015E33
	v_mul_f32_dpp v127, v51, v127 row_newbcast:15 row_mask:0xf bank_mask:0xf// 00000000556C: 0AFEFEFA FF015F33
	s_waitcnt vmcnt(28)                                        // 000000005574: BF8C4F7C
	buffer_load_dwordx4 a[0:3], v42, s[12:15], 0 offen         // 000000005578: E05C1000 8083002A
	v_mul_f32_e64 v52, -v128, s6                               // 000000005580: D1050034 20000D80
	v_mul_f32_e64 v53, -v129, s6                               // 000000005588: D1050035 20000D81
	v_mul_f32_e64 v54, -v130, s6                               // 000000005590: D1050036 20000D82
	v_mul_f32_e64 v55, -v131, s6                               // 000000005598: D1050037 20000D83
	v_exp_f32_e32 v52, v52                                     // 0000000055A0: 7E684134
	v_exp_f32_e32 v53, v53                                     // 0000000055A4: 7E6A4135
	v_exp_f32_e32 v54, v54                                     // 0000000055A8: 7E6C4136
	v_exp_f32_e32 v55, v55                                     // 0000000055AC: 7E6E4137
	buffer_load_dwordx4 a[4:7], v43, s[12:15], 0 offen         // 0000000055B0: E05C1000 8083042B
	v_add_f32_e64 v52, v52, 1.0                                // 0000000055B8: D1010034 0001E534
	v_add_f32_e64 v53, v53, 1.0                                // 0000000055C0: D1010035 0001E535
	v_add_f32_e64 v54, v54, 1.0                                // 0000000055C8: D1010036 0001E536
	v_add_f32_e64 v55, v55, 1.0                                // 0000000055D0: D1010037 0001E537
	v_rcp_f32_e32 v52, v52                                     // 0000000055D8: 7E684534
	v_rcp_f32_e32 v53, v53                                     // 0000000055DC: 7E6A4535
	v_rcp_f32_e32 v54, v54                                     // 0000000055E0: 7E6C4536
	v_rcp_f32_e32 v55, v55                                     // 0000000055E4: 7E6E4537
	v_mul_f32_e32 v128, v128, v52                              // 0000000055E8: 0B006980
	v_mul_f32_e32 v129, v129, v53                              // 0000000055EC: 0B026B81
	v_mul_f32_e32 v130, v130, v54                              // 0000000055F0: 0B046D82
	v_mul_f32_e32 v131, v131, v55                              // 0000000055F4: 0B066F83
	v_mul_f32_e32 v128, v128, v64                              // 0000000055F8: 0B008180
	v_mul_f32_e32 v129, v129, v65                              // 0000000055FC: 0B028381
	v_mul_f32_e32 v130, v130, v66                              // 000000005600: 0B048582
	v_mul_f32_e32 v131, v131, v67                              // 000000005604: 0B068783
	buffer_load_dwordx4 a[8:11], v44, s[12:15], 0 offen        // 000000005608: E05C1000 8083082C
	v_mul_f32_e64 v52, -v132, s6                               // 000000005610: D1050034 20000D84
	v_mul_f32_e64 v53, -v133, s6                               // 000000005618: D1050035 20000D85
	v_mul_f32_e64 v54, -v134, s6                               // 000000005620: D1050036 20000D86
	v_mul_f32_e64 v55, -v135, s6                               // 000000005628: D1050037 20000D87
	v_exp_f32_e32 v52, v52                                     // 000000005630: 7E684134
	v_exp_f32_e32 v53, v53                                     // 000000005634: 7E6A4135
	v_exp_f32_e32 v54, v54                                     // 000000005638: 7E6C4136
	v_exp_f32_e32 v55, v55                                     // 00000000563C: 7E6E4137
	buffer_load_dwordx4 a[12:15], v45, s[12:15], 0 offen       // 000000005640: E05C1000 80830C2D
	s_add_u32 s12, s78, s12                                    // 000000005648: 800C0C4E
	s_addc_u32 s13, 0, s13                                     // 00000000564C: 820D0D80
	v_add_f32_e64 v52, v52, 1.0                                // 000000005650: D1010034 0001E534
	v_add_f32_e64 v53, v53, 1.0                                // 000000005658: D1010035 0001E535
	v_add_f32_e64 v54, v54, 1.0                                // 000000005660: D1010036 0001E536
	v_add_f32_e64 v55, v55, 1.0                                // 000000005668: D1010037 0001E537
	v_rcp_f32_e32 v52, v52                                     // 000000005670: 7E684534
	v_rcp_f32_e32 v53, v53                                     // 000000005674: 7E6A4535
	v_rcp_f32_e32 v54, v54                                     // 000000005678: 7E6C4536
	v_rcp_f32_e32 v55, v55                                     // 00000000567C: 7E6E4537
	v_mul_f32_e32 v132, v132, v52                              // 000000005680: 0B086984
	v_mul_f32_e32 v133, v133, v53                              // 000000005684: 0B0A6B85
	v_mul_f32_e32 v134, v134, v54                              // 000000005688: 0B0C6D86
	v_mul_f32_e32 v135, v135, v55                              // 00000000568C: 0B0E6F87
	v_mul_f32_e32 v132, v132, v68                              // 000000005690: 0B088984
	v_mul_f32_e32 v133, v133, v69                              // 000000005694: 0B0A8B85
	v_mul_f32_e32 v134, v134, v70                              // 000000005698: 0B0C8D86
	v_mul_f32_e32 v135, v135, v71                              // 00000000569C: 0B0E8F87
	s_waitcnt vmcnt(28)                                        // 0000000056A0: BF8C4F7C
	buffer_load_dwordx4 a[16:19], v42, s[12:15], 0 offen       // 0000000056A4: E05C1000 8083102A
	v_mul_f32_e64 v52, -v136, s6                               // 0000000056AC: D1050034 20000D88
	v_mul_f32_e64 v53, -v137, s6                               // 0000000056B4: D1050035 20000D89
	v_mul_f32_e64 v54, -v138, s6                               // 0000000056BC: D1050036 20000D8A
	v_mul_f32_e64 v55, -v139, s6                               // 0000000056C4: D1050037 20000D8B
	v_exp_f32_e32 v52, v52                                     // 0000000056CC: 7E684134
	v_exp_f32_e32 v53, v53                                     // 0000000056D0: 7E6A4135
	v_exp_f32_e32 v54, v54                                     // 0000000056D4: 7E6C4136
	v_exp_f32_e32 v55, v55                                     // 0000000056D8: 7E6E4137
	buffer_load_dwordx4 a[20:23], v43, s[12:15], 0 offen       // 0000000056DC: E05C1000 8083142B
	v_add_f32_e64 v52, v52, 1.0                                // 0000000056E4: D1010034 0001E534
	v_add_f32_e64 v53, v53, 1.0                                // 0000000056EC: D1010035 0001E535
	v_add_f32_e64 v54, v54, 1.0                                // 0000000056F4: D1010036 0001E536
	v_add_f32_e64 v55, v55, 1.0                                // 0000000056FC: D1010037 0001E537
	v_rcp_f32_e32 v52, v52                                     // 000000005704: 7E684534
	v_rcp_f32_e32 v53, v53                                     // 000000005708: 7E6A4535
	v_rcp_f32_e32 v54, v54                                     // 00000000570C: 7E6C4536
	v_rcp_f32_e32 v55, v55                                     // 000000005710: 7E6E4537
	v_mul_f32_e32 v136, v136, v52                              // 000000005714: 0B106988
	v_mul_f32_e32 v137, v137, v53                              // 000000005718: 0B126B89
	v_mul_f32_e32 v138, v138, v54                              // 00000000571C: 0B146D8A
	v_mul_f32_e32 v139, v139, v55                              // 000000005720: 0B166F8B
	v_mul_f32_e32 v136, v136, v72                              // 000000005724: 0B109188
	v_mul_f32_e32 v137, v137, v73                              // 000000005728: 0B129389
	v_mul_f32_e32 v138, v138, v74                              // 00000000572C: 0B14958A
	v_mul_f32_e32 v139, v139, v75                              // 000000005730: 0B16978B
	buffer_load_dwordx4 a[24:27], v44, s[12:15], 0 offen       // 000000005734: E05C1000 8083182C
	v_mul_f32_e64 v52, -v140, s6                               // 00000000573C: D1050034 20000D8C
	v_mul_f32_e64 v53, -v141, s6                               // 000000005744: D1050035 20000D8D
	v_mul_f32_e64 v54, -v142, s6                               // 00000000574C: D1050036 20000D8E
	v_mul_f32_e64 v55, -v143, s6                               // 000000005754: D1050037 20000D8F
	v_exp_f32_e32 v52, v52                                     // 00000000575C: 7E684134
	v_exp_f32_e32 v53, v53                                     // 000000005760: 7E6A4135
	v_exp_f32_e32 v54, v54                                     // 000000005764: 7E6C4136
	v_exp_f32_e32 v55, v55                                     // 000000005768: 7E6E4137
	buffer_load_dwordx4 a[28:31], v45, s[12:15], 0 offen       // 00000000576C: E05C1000 80831C2D
	s_add_u32 s12, s78, s12                                    // 000000005774: 800C0C4E
	s_addc_u32 s13, 0, s13                                     // 000000005778: 820D0D80
	v_add_f32_e64 v52, v52, 1.0                                // 00000000577C: D1010034 0001E534
	v_add_f32_e64 v53, v53, 1.0                                // 000000005784: D1010035 0001E535
	v_add_f32_e64 v54, v54, 1.0                                // 00000000578C: D1010036 0001E536
	v_add_f32_e64 v55, v55, 1.0                                // 000000005794: D1010037 0001E537
	v_rcp_f32_e32 v52, v52                                     // 00000000579C: 7E684534
	v_rcp_f32_e32 v53, v53                                     // 0000000057A0: 7E6A4535
	v_rcp_f32_e32 v54, v54                                     // 0000000057A4: 7E6C4536
	v_rcp_f32_e32 v55, v55                                     // 0000000057A8: 7E6E4537
	v_mul_f32_e32 v140, v140, v52                              // 0000000057AC: 0B18698C
	v_mul_f32_e32 v141, v141, v53                              // 0000000057B0: 0B1A6B8D
	v_mul_f32_e32 v142, v142, v54                              // 0000000057B4: 0B1C6D8E
	v_mul_f32_e32 v143, v143, v55                              // 0000000057B8: 0B1E6F8F
	v_mul_f32_e32 v140, v140, v76                              // 0000000057BC: 0B18998C
	v_mul_f32_e32 v141, v141, v77                              // 0000000057C0: 0B1A9B8D
	v_mul_f32_e32 v142, v142, v78                              // 0000000057C4: 0B1C9D8E
	v_mul_f32_e32 v143, v143, v79                              // 0000000057C8: 0B1E9F8F
	s_waitcnt vmcnt(28)                                        // 0000000057CC: BF8C4F7C
	buffer_load_dwordx4 a[32:35], v42, s[12:15], 0 offen       // 0000000057D0: E05C1000 8083202A
	v_mul_f32_e64 v52, -v144, s6                               // 0000000057D8: D1050034 20000D90
	v_mul_f32_e64 v53, -v145, s6                               // 0000000057E0: D1050035 20000D91
	v_mul_f32_e64 v54, -v146, s6                               // 0000000057E8: D1050036 20000D92
	v_mul_f32_e64 v55, -v147, s6                               // 0000000057F0: D1050037 20000D93
	v_exp_f32_e32 v52, v52                                     // 0000000057F8: 7E684134
	v_exp_f32_e32 v53, v53                                     // 0000000057FC: 7E6A4135
	v_exp_f32_e32 v54, v54                                     // 000000005800: 7E6C4136
	v_exp_f32_e32 v55, v55                                     // 000000005804: 7E6E4137
	buffer_load_dwordx4 a[36:39], v43, s[12:15], 0 offen       // 000000005808: E05C1000 8083242B
	v_add_f32_e64 v52, v52, 1.0                                // 000000005810: D1010034 0001E534
	v_add_f32_e64 v53, v53, 1.0                                // 000000005818: D1010035 0001E535
	v_add_f32_e64 v54, v54, 1.0                                // 000000005820: D1010036 0001E536
	v_add_f32_e64 v55, v55, 1.0                                // 000000005828: D1010037 0001E537
	v_rcp_f32_e32 v52, v52                                     // 000000005830: 7E684534
	v_rcp_f32_e32 v53, v53                                     // 000000005834: 7E6A4535
	v_rcp_f32_e32 v54, v54                                     // 000000005838: 7E6C4536
	v_rcp_f32_e32 v55, v55                                     // 00000000583C: 7E6E4537
	v_mul_f32_e32 v144, v144, v52                              // 000000005840: 0B206990
	v_mul_f32_e32 v145, v145, v53                              // 000000005844: 0B226B91
	v_mul_f32_e32 v146, v146, v54                              // 000000005848: 0B246D92
	v_mul_f32_e32 v147, v147, v55                              // 00000000584C: 0B266F93
	v_mul_f32_e32 v144, v144, v80                              // 000000005850: 0B20A190
	v_mul_f32_e32 v145, v145, v81                              // 000000005854: 0B22A391
	v_mul_f32_e32 v146, v146, v82                              // 000000005858: 0B24A592
	v_mul_f32_e32 v147, v147, v83                              // 00000000585C: 0B26A793
	buffer_load_dwordx4 a[40:43], v44, s[12:15], 0 offen       // 000000005860: E05C1000 8083282C
	v_mul_f32_e64 v52, -v148, s6                               // 000000005868: D1050034 20000D94
	v_mul_f32_e64 v53, -v149, s6                               // 000000005870: D1050035 20000D95
	v_mul_f32_e64 v54, -v150, s6                               // 000000005878: D1050036 20000D96
	v_mul_f32_e64 v55, -v151, s6                               // 000000005880: D1050037 20000D97
	v_exp_f32_e32 v52, v52                                     // 000000005888: 7E684134
	v_exp_f32_e32 v53, v53                                     // 00000000588C: 7E6A4135
	v_exp_f32_e32 v54, v54                                     // 000000005890: 7E6C4136
	v_exp_f32_e32 v55, v55                                     // 000000005894: 7E6E4137
	buffer_load_dwordx4 a[44:47], v45, s[12:15], 0 offen       // 000000005898: E05C1000 80832C2D
	s_add_u32 s12, s78, s12                                    // 0000000058A0: 800C0C4E
	s_addc_u32 s13, 0, s13                                     // 0000000058A4: 820D0D80
	v_add_f32_e64 v52, v52, 1.0                                // 0000000058A8: D1010034 0001E534
	v_add_f32_e64 v53, v53, 1.0                                // 0000000058B0: D1010035 0001E535
	v_add_f32_e64 v54, v54, 1.0                                // 0000000058B8: D1010036 0001E536
	v_add_f32_e64 v55, v55, 1.0                                // 0000000058C0: D1010037 0001E537
	v_rcp_f32_e32 v52, v52                                     // 0000000058C8: 7E684534
	v_rcp_f32_e32 v53, v53                                     // 0000000058CC: 7E6A4535
	v_rcp_f32_e32 v54, v54                                     // 0000000058D0: 7E6C4536
	v_rcp_f32_e32 v55, v55                                     // 0000000058D4: 7E6E4537
	v_mul_f32_e32 v148, v148, v52                              // 0000000058D8: 0B286994
	v_mul_f32_e32 v149, v149, v53                              // 0000000058DC: 0B2A6B95
	v_mul_f32_e32 v150, v150, v54                              // 0000000058E0: 0B2C6D96
	v_mul_f32_e32 v151, v151, v55                              // 0000000058E4: 0B2E6F97
	v_mul_f32_e32 v148, v148, v84                              // 0000000058E8: 0B28A994
	v_mul_f32_e32 v149, v149, v85                              // 0000000058EC: 0B2AAB95
	v_mul_f32_e32 v150, v150, v86                              // 0000000058F0: 0B2CAD96
	v_mul_f32_e32 v151, v151, v87                              // 0000000058F4: 0B2EAF97
	s_waitcnt vmcnt(28)                                        // 0000000058F8: BF8C4F7C
	buffer_load_dwordx4 a[48:51], v42, s[12:15], 0 offen       // 0000000058FC: E05C1000 8083302A
	v_mul_f32_e64 v52, -v152, s6                               // 000000005904: D1050034 20000D98
	v_mul_f32_e64 v53, -v153, s6                               // 00000000590C: D1050035 20000D99
	v_mul_f32_e64 v54, -v154, s6                               // 000000005914: D1050036 20000D9A
	v_mul_f32_e64 v55, -v155, s6                               // 00000000591C: D1050037 20000D9B
	v_exp_f32_e32 v52, v52                                     // 000000005924: 7E684134
	v_exp_f32_e32 v53, v53                                     // 000000005928: 7E6A4135
	v_exp_f32_e32 v54, v54                                     // 00000000592C: 7E6C4136
	v_exp_f32_e32 v55, v55                                     // 000000005930: 7E6E4137
	buffer_load_dwordx4 a[52:55], v43, s[12:15], 0 offen       // 000000005934: E05C1000 8083342B
	v_add_f32_e64 v52, v52, 1.0                                // 00000000593C: D1010034 0001E534
	v_add_f32_e64 v53, v53, 1.0                                // 000000005944: D1010035 0001E535
	v_add_f32_e64 v54, v54, 1.0                                // 00000000594C: D1010036 0001E536
	v_add_f32_e64 v55, v55, 1.0                                // 000000005954: D1010037 0001E537
	v_rcp_f32_e32 v52, v52                                     // 00000000595C: 7E684534
	v_rcp_f32_e32 v53, v53                                     // 000000005960: 7E6A4535
	v_rcp_f32_e32 v54, v54                                     // 000000005964: 7E6C4536
	v_rcp_f32_e32 v55, v55                                     // 000000005968: 7E6E4537
	v_mul_f32_e32 v152, v152, v52                              // 00000000596C: 0B306998
	v_mul_f32_e32 v153, v153, v53                              // 000000005970: 0B326B99
	v_mul_f32_e32 v154, v154, v54                              // 000000005974: 0B346D9A
	v_mul_f32_e32 v155, v155, v55                              // 000000005978: 0B366F9B
	v_mul_f32_e32 v152, v152, v88                              // 00000000597C: 0B30B198
	v_mul_f32_e32 v153, v153, v89                              // 000000005980: 0B32B399
	v_mul_f32_e32 v154, v154, v90                              // 000000005984: 0B34B59A
	v_mul_f32_e32 v155, v155, v91                              // 000000005988: 0B36B79B
	buffer_load_dwordx4 a[56:59], v44, s[12:15], 0 offen       // 00000000598C: E05C1000 8083382C
	v_mul_f32_e64 v52, -v156, s6                               // 000000005994: D1050034 20000D9C
	v_mul_f32_e64 v53, -v157, s6                               // 00000000599C: D1050035 20000D9D
	v_mul_f32_e64 v54, -v158, s6                               // 0000000059A4: D1050036 20000D9E
	v_mul_f32_e64 v55, -v159, s6                               // 0000000059AC: D1050037 20000D9F
	v_exp_f32_e32 v52, v52                                     // 0000000059B4: 7E684134
	v_exp_f32_e32 v53, v53                                     // 0000000059B8: 7E6A4135
	v_exp_f32_e32 v54, v54                                     // 0000000059BC: 7E6C4136
	v_exp_f32_e32 v55, v55                                     // 0000000059C0: 7E6E4137
	buffer_load_dwordx4 a[60:63], v45, s[12:15], 0 offen       // 0000000059C4: E05C1000 80833C2D
	s_add_u32 s12, s78, s12                                    // 0000000059CC: 800C0C4E
	s_addc_u32 s13, 0, s13                                     // 0000000059D0: 820D0D80
	v_add_f32_e64 v52, v52, 1.0                                // 0000000059D4: D1010034 0001E534
	v_add_f32_e64 v53, v53, 1.0                                // 0000000059DC: D1010035 0001E535
	v_add_f32_e64 v54, v54, 1.0                                // 0000000059E4: D1010036 0001E536
	v_add_f32_e64 v55, v55, 1.0                                // 0000000059EC: D1010037 0001E537
	v_rcp_f32_e32 v52, v52                                     // 0000000059F4: 7E684534
	v_rcp_f32_e32 v53, v53                                     // 0000000059F8: 7E6A4535
	v_rcp_f32_e32 v54, v54                                     // 0000000059FC: 7E6C4536
	v_rcp_f32_e32 v55, v55                                     // 000000005A00: 7E6E4537
	v_mul_f32_e32 v156, v156, v52                              // 000000005A04: 0B38699C
	v_mul_f32_e32 v157, v157, v53                              // 000000005A08: 0B3A6B9D
	v_mul_f32_e32 v158, v158, v54                              // 000000005A0C: 0B3C6D9E
	v_mul_f32_e32 v159, v159, v55                              // 000000005A10: 0B3E6F9F
	v_mul_f32_e32 v156, v156, v92                              // 000000005A14: 0B38B99C
	v_mul_f32_e32 v157, v157, v93                              // 000000005A18: 0B3ABB9D
	v_mul_f32_e32 v158, v158, v94                              // 000000005A1C: 0B3CBD9E
	v_mul_f32_e32 v159, v159, v95                              // 000000005A20: 0B3EBF9F
	s_waitcnt vmcnt(28)                                        // 000000005A24: BF8C4F7C
	buffer_load_dwordx4 a[64:67], v42, s[12:15], 0 offen       // 000000005A28: E05C1000 8083402A
	v_mul_f32_e64 v52, -v160, s6                               // 000000005A30: D1050034 20000DA0
	v_mul_f32_e64 v53, -v161, s6                               // 000000005A38: D1050035 20000DA1
	v_mul_f32_e64 v54, -v162, s6                               // 000000005A40: D1050036 20000DA2
	v_mul_f32_e64 v55, -v163, s6                               // 000000005A48: D1050037 20000DA3
	v_exp_f32_e32 v52, v52                                     // 000000005A50: 7E684134
	v_exp_f32_e32 v53, v53                                     // 000000005A54: 7E6A4135
	v_exp_f32_e32 v54, v54                                     // 000000005A58: 7E6C4136
	v_exp_f32_e32 v55, v55                                     // 000000005A5C: 7E6E4137
	buffer_load_dwordx4 a[68:71], v43, s[12:15], 0 offen       // 000000005A60: E05C1000 8083442B
	v_add_f32_e64 v52, v52, 1.0                                // 000000005A68: D1010034 0001E534
	v_add_f32_e64 v53, v53, 1.0                                // 000000005A70: D1010035 0001E535
	v_add_f32_e64 v54, v54, 1.0                                // 000000005A78: D1010036 0001E536
	v_add_f32_e64 v55, v55, 1.0                                // 000000005A80: D1010037 0001E537
	v_rcp_f32_e32 v52, v52                                     // 000000005A88: 7E684534
	v_rcp_f32_e32 v53, v53                                     // 000000005A8C: 7E6A4535
	v_rcp_f32_e32 v54, v54                                     // 000000005A90: 7E6C4536
	v_rcp_f32_e32 v55, v55                                     // 000000005A94: 7E6E4537
	v_mul_f32_e32 v160, v160, v52                              // 000000005A98: 0B4069A0
	v_mul_f32_e32 v161, v161, v53                              // 000000005A9C: 0B426BA1
	v_mul_f32_e32 v162, v162, v54                              // 000000005AA0: 0B446DA2
	v_mul_f32_e32 v163, v163, v55                              // 000000005AA4: 0B466FA3
	v_mul_f32_e32 v160, v160, v96                              // 000000005AA8: 0B40C1A0
	v_mul_f32_e32 v161, v161, v97                              // 000000005AAC: 0B42C3A1
	v_mul_f32_e32 v162, v162, v98                              // 000000005AB0: 0B44C5A2
	v_mul_f32_e32 v163, v163, v99                              // 000000005AB4: 0B46C7A3
	buffer_load_dwordx4 a[72:75], v44, s[12:15], 0 offen       // 000000005AB8: E05C1000 8083482C
	v_mul_f32_e64 v52, -v164, s6                               // 000000005AC0: D1050034 20000DA4
	v_mul_f32_e64 v53, -v165, s6                               // 000000005AC8: D1050035 20000DA5
	v_mul_f32_e64 v54, -v166, s6                               // 000000005AD0: D1050036 20000DA6
	v_mul_f32_e64 v55, -v167, s6                               // 000000005AD8: D1050037 20000DA7
	v_exp_f32_e32 v52, v52                                     // 000000005AE0: 7E684134
	v_exp_f32_e32 v53, v53                                     // 000000005AE4: 7E6A4135
	v_exp_f32_e32 v54, v54                                     // 000000005AE8: 7E6C4136
	v_exp_f32_e32 v55, v55                                     // 000000005AEC: 7E6E4137
	buffer_load_dwordx4 a[76:79], v45, s[12:15], 0 offen       // 000000005AF0: E05C1000 80834C2D
	s_add_u32 s12, s78, s12                                    // 000000005AF8: 800C0C4E
	s_addc_u32 s13, 0, s13                                     // 000000005AFC: 820D0D80
	v_add_f32_e64 v52, v52, 1.0                                // 000000005B00: D1010034 0001E534
	v_add_f32_e64 v53, v53, 1.0                                // 000000005B08: D1010035 0001E535
	v_add_f32_e64 v54, v54, 1.0                                // 000000005B10: D1010036 0001E536
	v_add_f32_e64 v55, v55, 1.0                                // 000000005B18: D1010037 0001E537
	v_rcp_f32_e32 v52, v52                                     // 000000005B20: 7E684534
	v_rcp_f32_e32 v53, v53                                     // 000000005B24: 7E6A4535
	v_rcp_f32_e32 v54, v54                                     // 000000005B28: 7E6C4536
	v_rcp_f32_e32 v55, v55                                     // 000000005B2C: 7E6E4537
	v_mul_f32_e32 v164, v164, v52                              // 000000005B30: 0B4869A4
	v_mul_f32_e32 v165, v165, v53                              // 000000005B34: 0B4A6BA5
	v_mul_f32_e32 v166, v166, v54                              // 000000005B38: 0B4C6DA6
	v_mul_f32_e32 v167, v167, v55                              // 000000005B3C: 0B4E6FA7
	v_mul_f32_e32 v164, v164, v100                             // 000000005B40: 0B48C9A4
	v_mul_f32_e32 v165, v165, v101                             // 000000005B44: 0B4ACBA5
	v_mul_f32_e32 v166, v166, v102                             // 000000005B48: 0B4CCDA6
	v_mul_f32_e32 v167, v167, v103                             // 000000005B4C: 0B4ECFA7
	s_waitcnt vmcnt(28)                                        // 000000005B50: BF8C4F7C
	buffer_load_dwordx4 a[80:83], v42, s[12:15], 0 offen       // 000000005B54: E05C1000 8083502A
	v_mul_f32_e64 v52, -v168, s6                               // 000000005B5C: D1050034 20000DA8
	v_mul_f32_e64 v53, -v169, s6                               // 000000005B64: D1050035 20000DA9
	v_mul_f32_e64 v54, -v170, s6                               // 000000005B6C: D1050036 20000DAA
	v_mul_f32_e64 v55, -v171, s6                               // 000000005B74: D1050037 20000DAB
	v_exp_f32_e32 v52, v52                                     // 000000005B7C: 7E684134
	v_exp_f32_e32 v53, v53                                     // 000000005B80: 7E6A4135
	v_exp_f32_e32 v54, v54                                     // 000000005B84: 7E6C4136
	v_exp_f32_e32 v55, v55                                     // 000000005B88: 7E6E4137
	buffer_load_dwordx4 a[84:87], v43, s[12:15], 0 offen       // 000000005B8C: E05C1000 8083542B
	v_add_f32_e64 v52, v52, 1.0                                // 000000005B94: D1010034 0001E534
	v_add_f32_e64 v53, v53, 1.0                                // 000000005B9C: D1010035 0001E535
	v_add_f32_e64 v54, v54, 1.0                                // 000000005BA4: D1010036 0001E536
	v_add_f32_e64 v55, v55, 1.0                                // 000000005BAC: D1010037 0001E537
	v_rcp_f32_e32 v52, v52                                     // 000000005BB4: 7E684534
	v_rcp_f32_e32 v53, v53                                     // 000000005BB8: 7E6A4535
	v_rcp_f32_e32 v54, v54                                     // 000000005BBC: 7E6C4536
	v_rcp_f32_e32 v55, v55                                     // 000000005BC0: 7E6E4537
	v_mul_f32_e32 v168, v168, v52                              // 000000005BC4: 0B5069A8
	v_mul_f32_e32 v169, v169, v53                              // 000000005BC8: 0B526BA9
	v_mul_f32_e32 v170, v170, v54                              // 000000005BCC: 0B546DAA
	v_mul_f32_e32 v171, v171, v55                              // 000000005BD0: 0B566FAB
	v_mul_f32_e32 v168, v168, v104                             // 000000005BD4: 0B50D1A8
	v_mul_f32_e32 v169, v169, v105                             // 000000005BD8: 0B52D3A9
	v_mul_f32_e32 v170, v170, v106                             // 000000005BDC: 0B54D5AA
	v_mul_f32_e32 v171, v171, v107                             // 000000005BE0: 0B56D7AB
	buffer_load_dwordx4 a[88:91], v44, s[12:15], 0 offen       // 000000005BE4: E05C1000 8083582C
	v_mul_f32_e64 v52, -v172, s6                               // 000000005BEC: D1050034 20000DAC
	v_mul_f32_e64 v53, -v173, s6                               // 000000005BF4: D1050035 20000DAD
	v_mul_f32_e64 v54, -v174, s6                               // 000000005BFC: D1050036 20000DAE
	v_mul_f32_e64 v55, -v175, s6                               // 000000005C04: D1050037 20000DAF
	v_exp_f32_e32 v52, v52                                     // 000000005C0C: 7E684134
	v_exp_f32_e32 v53, v53                                     // 000000005C10: 7E6A4135
	v_exp_f32_e32 v54, v54                                     // 000000005C14: 7E6C4136
	v_exp_f32_e32 v55, v55                                     // 000000005C18: 7E6E4137
	buffer_load_dwordx4 a[92:95], v45, s[12:15], 0 offen       // 000000005C1C: E05C1000 80835C2D
	s_add_u32 s12, s78, s12                                    // 000000005C24: 800C0C4E
	s_addc_u32 s13, 0, s13                                     // 000000005C28: 820D0D80
	v_add_f32_e64 v52, v52, 1.0                                // 000000005C2C: D1010034 0001E534
	v_add_f32_e64 v53, v53, 1.0                                // 000000005C34: D1010035 0001E535
	v_add_f32_e64 v54, v54, 1.0                                // 000000005C3C: D1010036 0001E536
	v_add_f32_e64 v55, v55, 1.0                                // 000000005C44: D1010037 0001E537
	v_rcp_f32_e32 v52, v52                                     // 000000005C4C: 7E684534
	v_rcp_f32_e32 v53, v53                                     // 000000005C50: 7E6A4535
	v_rcp_f32_e32 v54, v54                                     // 000000005C54: 7E6C4536
	v_rcp_f32_e32 v55, v55                                     // 000000005C58: 7E6E4537
	v_mul_f32_e32 v172, v172, v52                              // 000000005C5C: 0B5869AC
	v_mul_f32_e32 v173, v173, v53                              // 000000005C60: 0B5A6BAD
	v_mul_f32_e32 v174, v174, v54                              // 000000005C64: 0B5C6DAE
	v_mul_f32_e32 v175, v175, v55                              // 000000005C68: 0B5E6FAF
	v_mul_f32_e32 v172, v172, v108                             // 000000005C6C: 0B58D9AC
	v_mul_f32_e32 v173, v173, v109                             // 000000005C70: 0B5ADBAD
	v_mul_f32_e32 v174, v174, v110                             // 000000005C74: 0B5CDDAE
	v_mul_f32_e32 v175, v175, v111                             // 000000005C78: 0B5EDFAF
	s_waitcnt vmcnt(28)                                        // 000000005C7C: BF8C4F7C
	buffer_load_dwordx4 a[96:99], v42, s[12:15], 0 offen       // 000000005C80: E05C1000 8083602A
	v_mul_f32_e64 v52, -v176, s6                               // 000000005C88: D1050034 20000DB0
	v_mul_f32_e64 v53, -v177, s6                               // 000000005C90: D1050035 20000DB1
	v_mul_f32_e64 v54, -v178, s6                               // 000000005C98: D1050036 20000DB2
	v_mul_f32_e64 v55, -v179, s6                               // 000000005CA0: D1050037 20000DB3
	v_exp_f32_e32 v52, v52                                     // 000000005CA8: 7E684134
	v_exp_f32_e32 v53, v53                                     // 000000005CAC: 7E6A4135
	v_exp_f32_e32 v54, v54                                     // 000000005CB0: 7E6C4136
	v_exp_f32_e32 v55, v55                                     // 000000005CB4: 7E6E4137
	buffer_load_dwordx4 a[100:103], v43, s[12:15], 0 offen     // 000000005CB8: E05C1000 8083642B
	v_add_f32_e64 v52, v52, 1.0                                // 000000005CC0: D1010034 0001E534
	v_add_f32_e64 v53, v53, 1.0                                // 000000005CC8: D1010035 0001E535
	v_add_f32_e64 v54, v54, 1.0                                // 000000005CD0: D1010036 0001E536
	v_add_f32_e64 v55, v55, 1.0                                // 000000005CD8: D1010037 0001E537
	v_rcp_f32_e32 v52, v52                                     // 000000005CE0: 7E684534
	v_rcp_f32_e32 v53, v53                                     // 000000005CE4: 7E6A4535
	v_rcp_f32_e32 v54, v54                                     // 000000005CE8: 7E6C4536
	v_rcp_f32_e32 v55, v55                                     // 000000005CEC: 7E6E4537
	v_mul_f32_e32 v176, v176, v52                              // 000000005CF0: 0B6069B0
	v_mul_f32_e32 v177, v177, v53                              // 000000005CF4: 0B626BB1
	v_mul_f32_e32 v178, v178, v54                              // 000000005CF8: 0B646DB2
	v_mul_f32_e32 v179, v179, v55                              // 000000005CFC: 0B666FB3
	v_mul_f32_e32 v176, v176, v112                             // 000000005D00: 0B60E1B0
	v_mul_f32_e32 v177, v177, v113                             // 000000005D04: 0B62E3B1
	v_mul_f32_e32 v178, v178, v114                             // 000000005D08: 0B64E5B2
	v_mul_f32_e32 v179, v179, v115                             // 000000005D0C: 0B66E7B3
	buffer_load_dwordx4 a[104:107], v44, s[12:15], 0 offen     // 000000005D10: E05C1000 8083682C
	v_mul_f32_e64 v52, -v180, s6                               // 000000005D18: D1050034 20000DB4
	v_mul_f32_e64 v53, -v181, s6                               // 000000005D20: D1050035 20000DB5
	v_mul_f32_e64 v54, -v182, s6                               // 000000005D28: D1050036 20000DB6
	v_mul_f32_e64 v55, -v183, s6                               // 000000005D30: D1050037 20000DB7
	v_exp_f32_e32 v52, v52                                     // 000000005D38: 7E684134
	v_exp_f32_e32 v53, v53                                     // 000000005D3C: 7E6A4135
	v_exp_f32_e32 v54, v54                                     // 000000005D40: 7E6C4136
	v_exp_f32_e32 v55, v55                                     // 000000005D44: 7E6E4137
	buffer_load_dwordx4 a[108:111], v45, s[12:15], 0 offen     // 000000005D48: E05C1000 80836C2D
	s_add_u32 s12, s78, s12                                    // 000000005D50: 800C0C4E
	s_addc_u32 s13, 0, s13                                     // 000000005D54: 820D0D80
	v_add_f32_e64 v52, v52, 1.0                                // 000000005D58: D1010034 0001E534
	v_add_f32_e64 v53, v53, 1.0                                // 000000005D60: D1010035 0001E535
	v_add_f32_e64 v54, v54, 1.0                                // 000000005D68: D1010036 0001E536
	v_add_f32_e64 v55, v55, 1.0                                // 000000005D70: D1010037 0001E537
	v_rcp_f32_e32 v52, v52                                     // 000000005D78: 7E684534
	v_rcp_f32_e32 v53, v53                                     // 000000005D7C: 7E6A4535
	v_rcp_f32_e32 v54, v54                                     // 000000005D80: 7E6C4536
	v_rcp_f32_e32 v55, v55                                     // 000000005D84: 7E6E4537
	v_mul_f32_e32 v180, v180, v52                              // 000000005D88: 0B6869B4
	v_mul_f32_e32 v181, v181, v53                              // 000000005D8C: 0B6A6BB5
	v_mul_f32_e32 v182, v182, v54                              // 000000005D90: 0B6C6DB6
	v_mul_f32_e32 v183, v183, v55                              // 000000005D94: 0B6E6FB7
	v_mul_f32_e32 v180, v180, v116                             // 000000005D98: 0B68E9B4
	v_mul_f32_e32 v181, v181, v117                             // 000000005D9C: 0B6AEBB5
	v_mul_f32_e32 v182, v182, v118                             // 000000005DA0: 0B6CEDB6
	v_mul_f32_e32 v183, v183, v119                             // 000000005DA4: 0B6EEFB7
	s_waitcnt vmcnt(28)                                        // 000000005DA8: BF8C4F7C
	buffer_load_dwordx4 a[112:115], v42, s[12:15], 0 offen     // 000000005DAC: E05C1000 8083702A
	v_mul_f32_e64 v52, -v184, s6                               // 000000005DB4: D1050034 20000DB8
	v_mul_f32_e64 v53, -v185, s6                               // 000000005DBC: D1050035 20000DB9
	v_mul_f32_e64 v54, -v186, s6                               // 000000005DC4: D1050036 20000DBA
	v_mul_f32_e64 v55, -v187, s6                               // 000000005DCC: D1050037 20000DBB
	v_exp_f32_e32 v52, v52                                     // 000000005DD4: 7E684134
	v_exp_f32_e32 v53, v53                                     // 000000005DD8: 7E6A4135
	v_exp_f32_e32 v54, v54                                     // 000000005DDC: 7E6C4136
	v_exp_f32_e32 v55, v55                                     // 000000005DE0: 7E6E4137
	buffer_load_dwordx4 a[116:119], v43, s[12:15], 0 offen     // 000000005DE4: E05C1000 8083742B
	v_add_f32_e64 v52, v52, 1.0                                // 000000005DEC: D1010034 0001E534
	v_add_f32_e64 v53, v53, 1.0                                // 000000005DF4: D1010035 0001E535
	v_add_f32_e64 v54, v54, 1.0                                // 000000005DFC: D1010036 0001E536
	v_add_f32_e64 v55, v55, 1.0                                // 000000005E04: D1010037 0001E537
	v_rcp_f32_e32 v52, v52                                     // 000000005E0C: 7E684534
	v_rcp_f32_e32 v53, v53                                     // 000000005E10: 7E6A4535
	v_rcp_f32_e32 v54, v54                                     // 000000005E14: 7E6C4536
	v_rcp_f32_e32 v55, v55                                     // 000000005E18: 7E6E4537
	v_mul_f32_e32 v184, v184, v52                              // 000000005E1C: 0B7069B8
	v_mul_f32_e32 v185, v185, v53                              // 000000005E20: 0B726BB9
	v_mul_f32_e32 v186, v186, v54                              // 000000005E24: 0B746DBA
	v_mul_f32_e32 v187, v187, v55                              // 000000005E28: 0B766FBB
	v_mul_f32_e32 v184, v184, v120                             // 000000005E2C: 0B70F1B8
	v_mul_f32_e32 v185, v185, v121                             // 000000005E30: 0B72F3B9
	v_mul_f32_e32 v186, v186, v122                             // 000000005E34: 0B74F5BA
	v_mul_f32_e32 v187, v187, v123                             // 000000005E38: 0B76F7BB
	buffer_load_dwordx4 a[120:123], v44, s[12:15], 0 offen     // 000000005E3C: E05C1000 8083782C
	v_mul_f32_e64 v52, -v188, s6                               // 000000005E44: D1050034 20000DBC
	v_mul_f32_e64 v53, -v189, s6                               // 000000005E4C: D1050035 20000DBD
	v_mul_f32_e64 v54, -v190, s6                               // 000000005E54: D1050036 20000DBE
	v_mul_f32_e64 v55, -v191, s6                               // 000000005E5C: D1050037 20000DBF
	v_exp_f32_e32 v52, v52                                     // 000000005E64: 7E684134
	v_exp_f32_e32 v53, v53                                     // 000000005E68: 7E6A4135
	v_exp_f32_e32 v54, v54                                     // 000000005E6C: 7E6C4136
	v_exp_f32_e32 v55, v55                                     // 000000005E70: 7E6E4137
	buffer_load_dwordx4 a[124:127], v45, s[12:15], 0 offen     // 000000005E74: E05C1000 80837C2D
	v_add_f32_e64 v52, v52, 1.0                                // 000000005E7C: D1010034 0001E534
	v_add_f32_e64 v53, v53, 1.0                                // 000000005E84: D1010035 0001E535
	v_add_f32_e64 v54, v54, 1.0                                // 000000005E8C: D1010036 0001E536
	v_add_f32_e64 v55, v55, 1.0                                // 000000005E94: D1010037 0001E537
	v_rcp_f32_e32 v52, v52                                     // 000000005E9C: 7E684534
	v_rcp_f32_e32 v53, v53                                     // 000000005EA0: 7E6A4535
	v_rcp_f32_e32 v54, v54                                     // 000000005EA4: 7E6C4536
	v_rcp_f32_e32 v55, v55                                     // 000000005EA8: 7E6E4537
	v_mul_f32_e32 v188, v188, v52                              // 000000005EAC: 0B7869BC
	v_mul_f32_e32 v189, v189, v53                              // 000000005EB0: 0B7A6BBD
	v_mul_f32_e32 v190, v190, v54                              // 000000005EB4: 0B7C6DBE
	v_mul_f32_e32 v191, v191, v55                              // 000000005EB8: 0B7E6FBF
	v_mul_f32_e32 v188, v188, v124                             // 000000005EBC: 0B78F9BC
	v_mul_f32_e32 v189, v189, v125                             // 000000005EC0: 0B7AFBBD
	v_mul_f32_e32 v190, v190, v126                             // 000000005EC4: 0B7CFDBE
	v_mul_f32_e32 v191, v191, v127                             // 000000005EC8: 0B7EFFBF
	v_lshlrev_b32_e32 v52, 2, v0                               // 000000005ECC: 24680082
	s_mul_i32 s60, s82, s71                                    // 000000005ED0: 923C4752
	v_add_u32_e64 v80, v52, s60                                // 000000005ED4: D1340050 00007934
	v_mov_b32_e32 v81, 0                                       // 000000005EDC: 7EA20280
	s_mul_i32 s60, s83, s71                                    // 000000005EE0: 923C4753
	v_add_u32_e64 v82, v52, s60                                // 000000005EE4: D1340052 00007934
	v_mov_b32_e32 v83, 0                                       // 000000005EEC: 7EA60280
	s_mul_i32 s60, s84, s71                                    // 000000005EF0: 923C4754
	v_add_u32_e64 v84, v52, s60                                // 000000005EF4: D1340054 00007934
	v_mov_b32_e32 v85, 0                                       // 000000005EFC: 7EAA0280
	s_mul_i32 s60, s85, s71                                    // 000000005F00: 923C4755
	v_add_u32_e64 v86, v52, s60                                // 000000005F04: D1340056 00007934
	v_mov_b32_e32 v87, 0                                       // 000000005F0C: 7EAE0280
	s_mul_i32 s60, s86, s71                                    // 000000005F10: 923C4756
	v_add_u32_e64 v88, v52, s60                                // 000000005F14: D1340058 00007934
	v_mov_b32_e32 v89, 0                                       // 000000005F1C: 7EB20280
	s_mul_i32 s60, s87, s71                                    // 000000005F20: 923C4757
	v_add_u32_e64 v90, v52, s60                                // 000000005F24: D134005A 00007934
	v_mov_b32_e32 v91, 0                                       // 000000005F2C: 7EB60280
	s_mul_i32 s60, s88, s71                                    // 000000005F30: 923C4758
	v_add_u32_e64 v92, v52, s60                                // 000000005F34: D134005C 00007934
	v_mov_b32_e32 v93, 0                                       // 000000005F3C: 7EBA0280
	s_mul_i32 s60, s89, s71                                    // 000000005F40: 923C4759
	v_add_u32_e64 v94, v52, s60                                // 000000005F44: D134005E 00007934
	v_mov_b32_e32 v95, 0                                       // 000000005F4C: 7EBE0280
	buffer_load_dword v12, v5, s[16:19], 0 offen               // 000000005F50: E0501000 80040C05
	v_mov_b32_e32 v22, 0x358637bd                              // 000000005F58: 7E2C02FF 358637BD
	v_mov_b32_e32 v23, 0x358637bd                              // 000000005F60: 7E2E02FF 358637BD
	v_max3_f32 v22, |v128|, |v129|, v22                        // 000000005F68: D1D30316 045B0380
	v_max3_f32 v22, |v130|, |v131|, v22                        // 000000005F70: D1D30316 045B0782
	v_max3_f32 v23, |v132|, |v133|, v23                        // 000000005F78: D1D30317 045F0B84
	v_max3_f32 v23, |v134|, |v135|, v23                        // 000000005F80: D1D30317 045F0F86
	v_max3_f32 v22, |v136|, |v137|, v22                        // 000000005F88: D1D30316 045B1388
	v_max3_f32 v22, |v138|, |v139|, v22                        // 000000005F90: D1D30316 045B178A
	v_max3_f32 v23, |v140|, |v141|, v23                        // 000000005F98: D1D30317 045F1B8C
	v_max3_f32 v23, |v142|, |v143|, v23                        // 000000005FA0: D1D30317 045F1F8E
	v_max3_f32 v22, |v144|, |v145|, v22                        // 000000005FA8: D1D30316 045B2390
	v_max3_f32 v22, |v146|, |v147|, v22                        // 000000005FB0: D1D30316 045B2792
	v_max3_f32 v23, |v148|, |v149|, v23                        // 000000005FB8: D1D30317 045F2B94
	v_max3_f32 v23, |v150|, |v151|, v23                        // 000000005FC0: D1D30317 045F2F96
	v_max3_f32 v22, |v152|, |v153|, v22                        // 000000005FC8: D1D30316 045B3398
	v_max3_f32 v22, |v154|, |v155|, v22                        // 000000005FD0: D1D30316 045B379A
	v_max3_f32 v23, |v156|, |v157|, v23                        // 000000005FD8: D1D30317 045F3B9C
	v_max3_f32 v23, |v158|, |v159|, v23                        // 000000005FE0: D1D30317 045F3F9E
	v_max3_f32 v22, |v160|, |v161|, v22                        // 000000005FE8: D1D30316 045B43A0
	v_max3_f32 v22, |v162|, |v163|, v22                        // 000000005FF0: D1D30316 045B47A2
	v_max3_f32 v23, |v164|, |v165|, v23                        // 000000005FF8: D1D30317 045F4BA4
	v_max3_f32 v23, |v166|, |v167|, v23                        // 000000006000: D1D30317 045F4FA6
	v_max3_f32 v22, |v168|, |v169|, v22                        // 000000006008: D1D30316 045B53A8
	v_max3_f32 v22, |v170|, |v171|, v22                        // 000000006010: D1D30316 045B57AA
	v_max3_f32 v23, |v172|, |v173|, v23                        // 000000006018: D1D30317 045F5BAC
	v_max3_f32 v23, |v174|, |v175|, v23                        // 000000006020: D1D30317 045F5FAE
	v_max3_f32 v22, |v176|, |v177|, v22                        // 000000006028: D1D30316 045B63B0
	v_max3_f32 v22, |v178|, |v179|, v22                        // 000000006030: D1D30316 045B67B2
	v_max3_f32 v23, |v180|, |v181|, v23                        // 000000006038: D1D30317 045F6BB4
	v_max3_f32 v23, |v182|, |v183|, v23                        // 000000006040: D1D30317 045F6FB6
	v_max3_f32 v22, |v184|, |v185|, v22                        // 000000006048: D1D30316 045B73B8
	v_max3_f32 v22, |v186|, |v187|, v22                        // 000000006050: D1D30316 045B77BA
	v_max3_f32 v23, |v188|, |v189|, v23                        // 000000006058: D1D30317 045F7BBC
	v_max3_f32 v23, |v190|, |v191|, v23                        // 000000006060: D1D30317 045F7FBE
	v_lshlrev_b32_e32 v52, 3, v0                               // 000000006068: 24680083
	s_mul_i32 s60, 0x200, s7                                   // 00000000606C: 923C07FF 00000200
	v_add_u32_e32 v52, s60, v52                                // 000000006074: 6868683C
	ds_write_b64 v52, v[22:23] offset:16640                    // 000000006078: D89A4100 00001634
	s_waitcnt lgkmcnt(0)                                       // 000000006080: BF8CC07F
	s_barrier                                                  // 000000006084: BF8A0000
	v_and_b32_e32 v52, 15, v0                                  // 000000006088: 2668008F
	v_lshlrev_b32_e32 v52, 3, v52                              // 00000000608C: 24686883
	ds_read_b64 v[96:97], v52 offset:16640                     // 000000006090: D8EC4100 60000034
	ds_read_b64 v[98:99], v52 offset:16768                     // 000000006098: D8EC4180 62000034
	ds_read_b64 v[100:101], v52 offset:16896                   // 0000000060A0: D8EC4200 64000034
	ds_read_b64 v[102:103], v52 offset:17024                   // 0000000060A8: D8EC4280 66000034
	ds_read_b64 v[104:105], v52 offset:17152                   // 0000000060B0: D8EC4300 68000034
	ds_read_b64 v[106:107], v52 offset:17280                   // 0000000060B8: D8EC4380 6A000034
	ds_read_b64 v[108:109], v52 offset:17408                   // 0000000060C0: D8EC4400 6C000034
	ds_read_b64 v[110:111], v52 offset:17536                   // 0000000060C8: D8EC4480 6E000034
	ds_read_b64 v[112:113], v52 offset:17664                   // 0000000060D0: D8EC4500 70000034
	ds_read_b64 v[114:115], v52 offset:17792                   // 0000000060D8: D8EC4580 72000034
	ds_read_b64 v[116:117], v52 offset:17920                   // 0000000060E0: D8EC4600 74000034
	ds_read_b64 v[118:119], v52 offset:18048                   // 0000000060E8: D8EC4680 76000034
	ds_read_b64 v[120:121], v52 offset:18176                   // 0000000060F0: D8EC4700 78000034
	ds_read_b64 v[122:123], v52 offset:18304                   // 0000000060F8: D8EC4780 7A000034
	ds_read_b64 v[124:125], v52 offset:18432                   // 000000006100: D8EC4800 7C000034
	ds_read_b64 v[126:127], v52 offset:18560                   // 000000006108: D8EC4880 7E000034
	s_waitcnt lgkmcnt(0)                                       // 000000006110: BF8CC07F
	v_max3_f32 v22, |v96|, |v98|, v22                          // 000000006114: D1D30316 045AC560
	v_max3_f32 v23, |v97|, |v99|, v23                          // 00000000611C: D1D30317 045EC761
	v_max3_f32 v22, |v100|, |v102|, v22                        // 000000006124: D1D30316 045ACD64
	v_max3_f32 v23, |v101|, |v103|, v23                        // 00000000612C: D1D30317 045ECF65
	v_max3_f32 v22, |v104|, |v106|, v22                        // 000000006134: D1D30316 045AD568
	v_max3_f32 v23, |v105|, |v107|, v23                        // 00000000613C: D1D30317 045ED769
	v_max3_f32 v22, |v108|, |v110|, v22                        // 000000006144: D1D30316 045ADD6C
	v_max3_f32 v23, |v109|, |v111|, v23                        // 00000000614C: D1D30317 045EDF6D
	v_max3_f32 v22, |v112|, |v114|, v22                        // 000000006154: D1D30316 045AE570
	v_max3_f32 v23, |v113|, |v115|, v23                        // 00000000615C: D1D30317 045EE771
	v_max3_f32 v22, |v116|, |v118|, v22                        // 000000006164: D1D30316 045AED74
	v_max3_f32 v23, |v117|, |v119|, v23                        // 00000000616C: D1D30317 045EEF75
	v_max3_f32 v22, |v120|, |v122|, v22                        // 000000006174: D1D30316 045AF578
	v_max3_f32 v23, |v121|, |v123|, v23                        // 00000000617C: D1D30317 045EF779
	v_max3_f32 v22, |v124|, |v126|, v22                        // 000000006184: D1D30316 045AFD7C
	v_max3_f32 v23, |v125|, |v127|, v23                        // 00000000618C: D1D30317 045EFF7D
	v_rcp_f32_e32 v22, v22                                     // 000000006194: 7E2C4516
	v_rcp_f32_e32 v23, v23                                     // 000000006198: 7E2E4517
	v_mov_b32_e32 v52, 0x43e00000                              // 00000000619C: 7E6802FF 43E00000
	v_mul_f32_e32 v22, v52, v22                                // 0000000061A4: 0A2C2D34
	v_mul_f32_e32 v23, v52, v23                                // 0000000061A8: 0A2E2F34
	v_mul_f32_e32 v128, v22, v128                              // 0000000061AC: 0B010116
	v_mul_f32_e32 v129, v22, v129                              // 0000000061B0: 0B030316
	v_mul_f32_e32 v130, v22, v130                              // 0000000061B4: 0B050516
	v_mul_f32_e32 v131, v22, v131                              // 0000000061B8: 0B070716
	v_cvt_pk_fp8_f32 v128, v128, v129                          // 0000000061BC: D2A20080 00030380
	v_cvt_pk_fp8_f32 v128, v130, v131 op_sel:[0,0,1]           // 0000000061C4: D2A24080 00030782
	v_mul_f32_e32 v132, v23, v132                              // 0000000061CC: 0B090917
	v_mul_f32_e32 v133, v23, v133                              // 0000000061D0: 0B0B0B17
	v_mul_f32_e32 v134, v23, v134                              // 0000000061D4: 0B0D0D17
	v_mul_f32_e32 v135, v23, v135                              // 0000000061D8: 0B0F0F17
	v_cvt_pk_fp8_f32 v129, v132, v133                          // 0000000061DC: D2A20081 00030B84
	v_cvt_pk_fp8_f32 v129, v134, v135 op_sel:[0,0,1]           // 0000000061E4: D2A24081 00030F86
	v_mul_f32_e32 v136, v22, v136                              // 0000000061EC: 0B111116
	v_mul_f32_e32 v137, v22, v137                              // 0000000061F0: 0B131316
	v_mul_f32_e32 v138, v22, v138                              // 0000000061F4: 0B151516
	v_mul_f32_e32 v139, v22, v139                              // 0000000061F8: 0B171716
	v_cvt_pk_fp8_f32 v130, v136, v137                          // 0000000061FC: D2A20082 00031388
	v_cvt_pk_fp8_f32 v130, v138, v139 op_sel:[0,0,1]           // 000000006204: D2A24082 0003178A
	v_mul_f32_e32 v140, v23, v140                              // 00000000620C: 0B191917
	v_mul_f32_e32 v141, v23, v141                              // 000000006210: 0B1B1B17
	v_mul_f32_e32 v142, v23, v142                              // 000000006214: 0B1D1D17
	v_mul_f32_e32 v143, v23, v143                              // 000000006218: 0B1F1F17
	v_cvt_pk_fp8_f32 v131, v140, v141                          // 00000000621C: D2A20083 00031B8C
	v_cvt_pk_fp8_f32 v131, v142, v143 op_sel:[0,0,1]           // 000000006224: D2A24083 00031F8E
	v_mul_f32_e32 v144, v22, v144                              // 00000000622C: 0B212116
	v_mul_f32_e32 v145, v22, v145                              // 000000006230: 0B232316
	v_mul_f32_e32 v146, v22, v146                              // 000000006234: 0B252516
	v_mul_f32_e32 v147, v22, v147                              // 000000006238: 0B272716
	v_cvt_pk_fp8_f32 v132, v144, v145                          // 00000000623C: D2A20084 00032390
	v_cvt_pk_fp8_f32 v132, v146, v147 op_sel:[0,0,1]           // 000000006244: D2A24084 00032792
	v_mul_f32_e32 v148, v23, v148                              // 00000000624C: 0B292917
	v_mul_f32_e32 v149, v23, v149                              // 000000006250: 0B2B2B17
	v_mul_f32_e32 v150, v23, v150                              // 000000006254: 0B2D2D17
	v_mul_f32_e32 v151, v23, v151                              // 000000006258: 0B2F2F17
	v_cvt_pk_fp8_f32 v133, v148, v149                          // 00000000625C: D2A20085 00032B94
	v_cvt_pk_fp8_f32 v133, v150, v151 op_sel:[0,0,1]           // 000000006264: D2A24085 00032F96
	v_mul_f32_e32 v152, v22, v152                              // 00000000626C: 0B313116
	v_mul_f32_e32 v153, v22, v153                              // 000000006270: 0B333316
	v_mul_f32_e32 v154, v22, v154                              // 000000006274: 0B353516
	v_mul_f32_e32 v155, v22, v155                              // 000000006278: 0B373716
	v_cvt_pk_fp8_f32 v134, v152, v153                          // 00000000627C: D2A20086 00033398
	v_cvt_pk_fp8_f32 v134, v154, v155 op_sel:[0,0,1]           // 000000006284: D2A24086 0003379A
	v_mul_f32_e32 v156, v23, v156                              // 00000000628C: 0B393917
	v_mul_f32_e32 v157, v23, v157                              // 000000006290: 0B3B3B17
	v_mul_f32_e32 v158, v23, v158                              // 000000006294: 0B3D3D17
	v_mul_f32_e32 v159, v23, v159                              // 000000006298: 0B3F3F17
	v_cvt_pk_fp8_f32 v135, v156, v157                          // 00000000629C: D2A20087 00033B9C
	v_cvt_pk_fp8_f32 v135, v158, v159 op_sel:[0,0,1]           // 0000000062A4: D2A24087 00033F9E
	v_mul_f32_e32 v160, v22, v160                              // 0000000062AC: 0B414116
	v_mul_f32_e32 v161, v22, v161                              // 0000000062B0: 0B434316
	v_mul_f32_e32 v162, v22, v162                              // 0000000062B4: 0B454516
	v_mul_f32_e32 v163, v22, v163                              // 0000000062B8: 0B474716
	v_cvt_pk_fp8_f32 v136, v160, v161                          // 0000000062BC: D2A20088 000343A0
	v_cvt_pk_fp8_f32 v136, v162, v163 op_sel:[0,0,1]           // 0000000062C4: D2A24088 000347A2
	v_mul_f32_e32 v164, v23, v164                              // 0000000062CC: 0B494917
	v_mul_f32_e32 v165, v23, v165                              // 0000000062D0: 0B4B4B17
	v_mul_f32_e32 v166, v23, v166                              // 0000000062D4: 0B4D4D17
	v_mul_f32_e32 v167, v23, v167                              // 0000000062D8: 0B4F4F17
	v_cvt_pk_fp8_f32 v137, v164, v165                          // 0000000062DC: D2A20089 00034BA4
	v_cvt_pk_fp8_f32 v137, v166, v167 op_sel:[0,0,1]           // 0000000062E4: D2A24089 00034FA6
	v_mul_f32_e32 v168, v22, v168                              // 0000000062EC: 0B515116
	v_mul_f32_e32 v169, v22, v169                              // 0000000062F0: 0B535316
	v_mul_f32_e32 v170, v22, v170                              // 0000000062F4: 0B555516
	v_mul_f32_e32 v171, v22, v171                              // 0000000062F8: 0B575716
	v_cvt_pk_fp8_f32 v138, v168, v169                          // 0000000062FC: D2A2008A 000353A8
	v_cvt_pk_fp8_f32 v138, v170, v171 op_sel:[0,0,1]           // 000000006304: D2A2408A 000357AA
	v_mul_f32_e32 v172, v23, v172                              // 00000000630C: 0B595917
	v_mul_f32_e32 v173, v23, v173                              // 000000006310: 0B5B5B17
	v_mul_f32_e32 v174, v23, v174                              // 000000006314: 0B5D5D17
	v_mul_f32_e32 v175, v23, v175                              // 000000006318: 0B5F5F17
	v_cvt_pk_fp8_f32 v139, v172, v173                          // 00000000631C: D2A2008B 00035BAC
	v_cvt_pk_fp8_f32 v139, v174, v175 op_sel:[0,0,1]           // 000000006324: D2A2408B 00035FAE
	v_mul_f32_e32 v176, v22, v176                              // 00000000632C: 0B616116
	v_mul_f32_e32 v177, v22, v177                              // 000000006330: 0B636316
	v_mul_f32_e32 v178, v22, v178                              // 000000006334: 0B656516
	v_mul_f32_e32 v179, v22, v179                              // 000000006338: 0B676716
	v_cvt_pk_fp8_f32 v140, v176, v177                          // 00000000633C: D2A2008C 000363B0
	v_cvt_pk_fp8_f32 v140, v178, v179 op_sel:[0,0,1]           // 000000006344: D2A2408C 000367B2
	v_mul_f32_e32 v180, v23, v180                              // 00000000634C: 0B696917
	v_mul_f32_e32 v181, v23, v181                              // 000000006350: 0B6B6B17
	v_mul_f32_e32 v182, v23, v182                              // 000000006354: 0B6D6D17
	v_mul_f32_e32 v183, v23, v183                              // 000000006358: 0B6F6F17
	v_cvt_pk_fp8_f32 v141, v180, v181                          // 00000000635C: D2A2008D 00036BB4
	v_cvt_pk_fp8_f32 v141, v182, v183 op_sel:[0,0,1]           // 000000006364: D2A2408D 00036FB6
	v_mul_f32_e32 v184, v22, v184                              // 00000000636C: 0B717116
	v_mul_f32_e32 v185, v22, v185                              // 000000006370: 0B737316
	v_mul_f32_e32 v186, v22, v186                              // 000000006374: 0B757516
	v_mul_f32_e32 v187, v22, v187                              // 000000006378: 0B777716
	v_cvt_pk_fp8_f32 v142, v184, v185                          // 00000000637C: D2A2008E 000373B8
	v_cvt_pk_fp8_f32 v142, v186, v187 op_sel:[0,0,1]           // 000000006384: D2A2408E 000377BA
	v_mul_f32_e32 v188, v23, v188                              // 00000000638C: 0B797917
	v_mul_f32_e32 v189, v23, v189                              // 000000006390: 0B7B7B17
	v_mul_f32_e32 v190, v23, v190                              // 000000006394: 0B7D7D17
	v_mul_f32_e32 v191, v23, v191                              // 000000006398: 0B7F7F17
	v_cvt_pk_fp8_f32 v143, v188, v189                          // 00000000639C: D2A2008F 00037BBC
	v_cvt_pk_fp8_f32 v143, v190, v191 op_sel:[0,0,1]           // 0000000063A4: D2A2408F 00037FBE
	v_rcp_f32_e32 v24, v22                                     // 0000000063AC: 7E304516
	v_rcp_f32_e32 v25, v23                                     // 0000000063B0: 7E324517
	v_lshrrev_b32_e32 v52, 5, v0                               // 0000000063B4: 20680085
	v_lshlrev_b32_e32 v53, 5, v52                              // 0000000063B8: 246A6885
	v_and_b32_e32 v52, 31, v0                                  // 0000000063BC: 2668009F
	v_lshrrev_b32_e32 v54, 4, v52                              // 0000000063C0: 206C6884
	v_add_u32_e32 v53, v54, v53                                // 0000000063C4: 686A6B36
	v_and_b32_e32 v52, 15, v0                                  // 0000000063C8: 2668008F
	v_lshlrev_b32_e32 v52, 1, v52                              // 0000000063CC: 24686881
	v_add_u32_e32 v53, v52, v53                                // 0000000063D0: 686A6B34
	v_lshlrev_b32_e32 v52, 2, v53                              // 0000000063D4: 24686A82
	s_mul_i32 s60, 0x100, s7                                   // 0000000063D8: 923C07FF 00000100
	v_add_u32_e64 v52, v52, s60                                // 0000000063E0: D1340034 00007934
	ds_write_b32 v52, v128 offset:18688                        // 0000000063E8: D81A4900 00008034
	ds_write_b32 v52, v129 offset:26880                        // 0000000063F0: D81A6900 00008134
	ds_write_b32 v52, v130 offset:19712                        // 0000000063F8: D81A4D00 00008234
	ds_write_b32 v52, v131 offset:27904                        // 000000006400: D81A6D00 00008334
	ds_write_b32 v52, v132 offset:20736                        // 000000006408: D81A5100 00008434
	ds_write_b32 v52, v133 offset:28928                        // 000000006410: D81A7100 00008534
	ds_write_b32 v52, v134 offset:21760                        // 000000006418: D81A5500 00008634
	ds_write_b32 v52, v135 offset:29952                        // 000000006420: D81A7500 00008734
	ds_write_b32 v52, v136 offset:22784                        // 000000006428: D81A5900 00008834
	ds_write_b32 v52, v137 offset:30976                        // 000000006430: D81A7900 00008934
	ds_write_b32 v52, v138 offset:23808                        // 000000006438: D81A5D00 00008A34
	ds_write_b32 v52, v139 offset:32000                        // 000000006440: D81A7D00 00008B34
	ds_write_b32 v52, v140 offset:24832                        // 000000006448: D81A6100 00008C34
	ds_write_b32 v52, v141 offset:33024                        // 000000006450: D81A8100 00008D34
	ds_write_b32 v52, v142 offset:25856                        // 000000006458: D81A6500 00008E34
	ds_write_b32 v52, v143 offset:34048                        // 000000006460: D81A8500 00008F34
	s_waitcnt lgkmcnt(0)                                       // 000000006468: BF8CC07F
	s_barrier                                                  // 00000000646C: BF8A0000
	v_lshrrev_b32_e32 v52, 4, v0                               // 000000006470: 20680084
	v_lshlrev_b32_e32 v53, 6, v52                              // 000000006474: 246A6886
	v_and_b32_e32 v52, 15, v0                                  // 000000006478: 2668008F
	v_lshlrev_b32_e32 v52, 1, v52                              // 00000000647C: 24686881
	v_add_u32_e32 v53, v52, v53                                // 000000006480: 686A6B34
	v_lshlrev_b32_e32 v52, 2, v53                              // 000000006484: 24686A82
	ds_read_b64 v[128:129], v52 offset:18688                   // 000000006488: D8EC4900 80000034
	ds_read_b64 v[130:131], v52 offset:18816                   // 000000006490: D8EC4980 82000034
	ds_read_b64 v[132:133], v52 offset:19712                   // 000000006498: D8EC4D00 84000034
	ds_read_b64 v[134:135], v52 offset:19840                   // 0000000064A0: D8EC4D80 86000034
	ds_read_b64 v[136:137], v52 offset:20736                   // 0000000064A8: D8EC5100 88000034
	ds_read_b64 v[138:139], v52 offset:20864                   // 0000000064B0: D8EC5180 8A000034
	ds_read_b64 v[140:141], v52 offset:21760                   // 0000000064B8: D8EC5500 8C000034
	ds_read_b64 v[142:143], v52 offset:21888                   // 0000000064C0: D8EC5580 8E000034
	ds_read_b64 v[144:145], v52 offset:22784                   // 0000000064C8: D8EC5900 90000034
	ds_read_b64 v[146:147], v52 offset:22912                   // 0000000064D0: D8EC5980 92000034
	ds_read_b64 v[148:149], v52 offset:23808                   // 0000000064D8: D8EC5D00 94000034
	ds_read_b64 v[150:151], v52 offset:23936                   // 0000000064E0: D8EC5D80 96000034
	ds_read_b64 v[152:153], v52 offset:24832                   // 0000000064E8: D8EC6100 98000034
	ds_read_b64 v[154:155], v52 offset:24960                   // 0000000064F0: D8EC6180 9A000034
	ds_read_b64 v[156:157], v52 offset:25856                   // 0000000064F8: D8EC6500 9C000034
	ds_read_b64 v[158:159], v52 offset:25984                   // 000000006500: D8EC6580 9E000034
	ds_read_b64 v[160:161], v52 offset:26880                   // 000000006508: D8EC6900 A0000034
	ds_read_b64 v[162:163], v52 offset:27008                   // 000000006510: D8EC6980 A2000034
	ds_read_b64 v[164:165], v52 offset:27904                   // 000000006518: D8EC6D00 A4000034
	ds_read_b64 v[166:167], v52 offset:28032                   // 000000006520: D8EC6D80 A6000034
	ds_read_b64 v[168:169], v52 offset:28928                   // 000000006528: D8EC7100 A8000034
	ds_read_b64 v[170:171], v52 offset:29056                   // 000000006530: D8EC7180 AA000034
	ds_read_b64 v[172:173], v52 offset:29952                   // 000000006538: D8EC7500 AC000034
	ds_read_b64 v[174:175], v52 offset:30080                   // 000000006540: D8EC7580 AE000034
	ds_read_b64 v[176:177], v52 offset:30976                   // 000000006548: D8EC7900 B0000034
	ds_read_b64 v[178:179], v52 offset:31104                   // 000000006550: D8EC7980 B2000034
	ds_read_b64 v[180:181], v52 offset:32000                   // 000000006558: D8EC7D00 B4000034
	ds_read_b64 v[182:183], v52 offset:32128                   // 000000006560: D8EC7D80 B6000034
	ds_read_b64 v[184:185], v52 offset:33024                   // 000000006568: D8EC8100 B8000034
	ds_read_b64 v[186:187], v52 offset:33152                   // 000000006570: D8EC8180 BA000034
	ds_read_b64 v[188:189], v52 offset:34048                   // 000000006578: D8EC8500 BC000034
	ds_read_b64 v[190:191], v52 offset:34176                   // 000000006580: D8EC8580 BE000034
	s_add_u32 s12, s56, s12                                    // 000000006588: 800C0C38
	s_addc_u32 s13, 0, s13                                     // 00000000658C: 820D0D80
	s_add_u32 s16, s79, s16                                    // 000000006590: 8010104F
	s_addc_u32 s17, 0, s17                                     // 000000006594: 82111180
	s_waitcnt lgkmcnt(0)                                       // 000000006598: BF8CC07F
	s_barrier                                                  // 00000000659C: BF8A0000
	v_mov_b32_e32 v192, 0                                      // 0000000065A0: 7F800280
	v_mov_b32_e32 v224, 0                                      // 0000000065A4: 7FC00280
	v_mov_b32_e32 v193, 0                                      // 0000000065A8: 7F820280
	v_mov_b32_e32 v225, 0                                      // 0000000065AC: 7FC20280
	v_mov_b32_e32 v194, 0                                      // 0000000065B0: 7F840280
	v_mov_b32_e32 v226, 0                                      // 0000000065B4: 7FC40280
	v_mov_b32_e32 v195, 0                                      // 0000000065B8: 7F860280
	v_mov_b32_e32 v227, 0                                      // 0000000065BC: 7FC60280
	v_mov_b32_e32 v196, 0                                      // 0000000065C0: 7F880280
	v_mov_b32_e32 v228, 0                                      // 0000000065C4: 7FC80280
	v_mov_b32_e32 v197, 0                                      // 0000000065C8: 7F8A0280
	v_mov_b32_e32 v229, 0                                      // 0000000065CC: 7FCA0280
	v_mov_b32_e32 v198, 0                                      // 0000000065D0: 7F8C0280
	v_mov_b32_e32 v230, 0                                      // 0000000065D4: 7FCC0280
	v_mov_b32_e32 v199, 0                                      // 0000000065D8: 7F8E0280
	v_mov_b32_e32 v231, 0                                      // 0000000065DC: 7FCE0280
	v_mov_b32_e32 v200, 0                                      // 0000000065E0: 7F900280
	v_mov_b32_e32 v232, 0                                      // 0000000065E4: 7FD00280
	v_mov_b32_e32 v201, 0                                      // 0000000065E8: 7F920280
	v_mov_b32_e32 v233, 0                                      // 0000000065EC: 7FD20280
	v_mov_b32_e32 v202, 0                                      // 0000000065F0: 7F940280
	v_mov_b32_e32 v234, 0                                      // 0000000065F4: 7FD40280
	v_mov_b32_e32 v203, 0                                      // 0000000065F8: 7F960280
	v_mov_b32_e32 v235, 0                                      // 0000000065FC: 7FD60280
	v_mov_b32_e32 v204, 0                                      // 000000006600: 7F980280
	v_mov_b32_e32 v236, 0                                      // 000000006604: 7FD80280
	v_mov_b32_e32 v205, 0                                      // 000000006608: 7F9A0280
	v_mov_b32_e32 v237, 0                                      // 00000000660C: 7FDA0280
	v_mov_b32_e32 v206, 0                                      // 000000006610: 7F9C0280
	v_mov_b32_e32 v238, 0                                      // 000000006614: 7FDC0280
	v_mov_b32_e32 v207, 0                                      // 000000006618: 7F9E0280
	v_mov_b32_e32 v239, 0                                      // 00000000661C: 7FDE0280
	ds_write_b64 v3, v[192:193] offset:18688                   // 000000006620: D89A4900 0000C003
	ds_write_b64 v3, v[194:195] offset:27392                   // 000000006628: D89A6B00 0000C203
	ds_write_b64 v3, v[196:197] offset:20864                   // 000000006630: D89A5180 0000C403
	ds_write_b64 v3, v[198:199] offset:29568                   // 000000006638: D89A7380 0000C603
	ds_write_b64 v3, v[200:201] offset:23040                   // 000000006640: D89A5A00 0000C803
	ds_write_b64 v3, v[202:203] offset:31744                   // 000000006648: D89A7C00 0000CA03
	ds_write_b64 v3, v[204:205] offset:25216                   // 000000006650: D89A6280 0000CC03
	ds_write_b64 v3, v[206:207] offset:33920                   // 000000006658: D89A8480 0000CE03
	s_mov_b32 s80, 0                                           // 000000006660: BED00080
	s_waitcnt vmcnt(0) expcnt(0) lgkmcnt(0)                    // 000000006664: BF8C0000

0000000000006668 <label_0E1A>:
	s_waitcnt vmcnt(29) lgkmcnt(0)                             // 000000006668: BF8C407D
	s_barrier                                                  // 00000000666C: BF8A0000
	v_mfma_f32_16x16x32_fp8_fp8 v[192:195], a[0:1], v[128:129], 0// 000000006670: D3F300C0 0A030100
	ds_read_b32 v64, v4 offset:18688                           // 000000006678: D86C4900 40000004
	ds_read_b32 v65, v4 offset:23040                           // 000000006680: D86C5A00 41000004
	v_mfma_f32_16x16x32_fp8_fp8 v[192:195], a[2:3], v[130:131], v[192:195]// 000000006688: D3F300C0 0F030502
	buffer_load_dwordx4 a[128:131], v42, s[12:15], 0 offen     // 000000006690: E05C1000 8083802A
	v_mfma_f32_16x16x32_fp8_fp8 v[196:199], a[0:1], v[160:161], 0// 000000006698: D3F300C4 0A034100
	ds_read_b32 v66, v4 offset:18720                           // 0000000066A0: D86C4920 42000004
	ds_read_b32 v67, v4 offset:23072                           // 0000000066A8: D86C5A20 43000004
	v_mfma_f32_16x16x32_fp8_fp8 v[196:199], a[2:3], v[162:163], v[196:199]// 0000000066B0: D3F300C4 0F134502
	v_mfma_f32_16x16x32_fp8_fp8 v[200:203], a[4:5], v[128:129], 0// 0000000066B8: D3F300C8 0A030104
	ds_read_b32 v68, v4 offset:18752                           // 0000000066C0: D86C4940 44000004
	ds_read_b32 v69, v4 offset:23104                           // 0000000066C8: D86C5A40 45000004
	v_mfma_f32_16x16x32_fp8_fp8 v[200:203], a[6:7], v[130:131], v[200:203]// 0000000066D0: D3F300C8 0F230506
	buffer_load_dwordx4 a[132:135], v43, s[12:15], 0 offen     // 0000000066D8: E05C1000 8083842B
	v_mfma_f32_16x16x32_fp8_fp8 v[204:207], a[4:5], v[160:161], 0// 0000000066E0: D3F300CC 0A034104
	ds_read_b32 v70, v4 offset:18784                           // 0000000066E8: D86C4960 46000004
	ds_read_b32 v71, v4 offset:23136                           // 0000000066F0: D86C5A60 47000004
	v_mfma_f32_16x16x32_fp8_fp8 v[204:207], a[6:7], v[162:163], v[204:207]// 0000000066F8: D3F300CC 0F334506
	v_mfma_f32_16x16x32_fp8_fp8 v[208:211], a[8:9], v[128:129], 0// 000000006700: D3F300D0 0A030108
	ds_read_b32 v72, v4 offset:27392                           // 000000006708: D86C6B00 48000004
	ds_read_b32 v73, v4 offset:31744                           // 000000006710: D86C7C00 49000004
	v_mfma_f32_16x16x32_fp8_fp8 v[208:211], a[10:11], v[130:131], v[208:211]// 000000006718: D3F300D0 0F43050A
	buffer_load_dwordx4 a[136:139], v44, s[12:15], 0 offen     // 000000006720: E05C1000 8083882C
	v_mfma_f32_16x16x32_fp8_fp8 v[212:215], a[8:9], v[160:161], 0// 000000006728: D3F300D4 0A034108
	ds_read_b32 v74, v4 offset:27424                           // 000000006730: D86C6B20 4A000004
	ds_read_b32 v75, v4 offset:31776                           // 000000006738: D86C7C20 4B000004
	v_mfma_f32_16x16x32_fp8_fp8 v[212:215], a[10:11], v[162:163], v[212:215]// 000000006740: D3F300D4 0F53450A
	v_mfma_f32_16x16x32_fp8_fp8 v[216:219], a[12:13], v[128:129], 0// 000000006748: D3F300D8 0A03010C
	ds_read_b32 v76, v4 offset:27456                           // 000000006750: D86C6B40 4C000004
	ds_read_b32 v77, v4 offset:31808                           // 000000006758: D86C7C40 4D000004
	v_mfma_f32_16x16x32_fp8_fp8 v[216:219], a[14:15], v[130:131], v[216:219]// 000000006760: D3F300D8 0F63050E
	buffer_load_dwordx4 a[140:143], v45, s[12:15], 0 offen     // 000000006768: E05C1000 80838C2D
	s_add_u32 s12, s78, s12                                    // 000000006770: 800C0C4E
	s_addc_u32 s13, 0, s13                                     // 000000006774: 820D0D80
	v_mfma_f32_16x16x32_fp8_fp8 v[220:223], a[12:13], v[160:161], 0// 000000006778: D3F300DC 0A03410C
	ds_read_b32 v78, v4 offset:27488                           // 000000006780: D86C6B60 4E000004
	ds_read_b32 v79, v4 offset:31840                           // 000000006788: D86C7C60 4F000004
	v_mfma_f32_16x16x32_fp8_fp8 v[220:223], a[14:15], v[162:163], v[220:223]// 000000006790: D3F300DC 0F73450E
	s_waitcnt vmcnt(29)                                        // 000000006798: BF8C4F7D
	v_mfma_f32_16x16x32_fp8_fp8 v[192:195], a[16:17], v[132:133], v[192:195]// 00000000679C: D3F300C0 0F030910
	v_mfma_f32_16x16x32_fp8_fp8 v[192:195], a[18:19], v[134:135], v[192:195]// 0000000067A4: D3F300C0 0F030D12
	buffer_load_dwordx4 a[144:147], v42, s[12:15], 0 offen     // 0000000067AC: E05C1000 8083902A
	v_mfma_f32_16x16x32_fp8_fp8 v[196:199], a[16:17], v[164:165], v[196:199]// 0000000067B4: D3F300C4 0F134910
	v_mfma_f32_16x16x32_fp8_fp8 v[196:199], a[18:19], v[166:167], v[196:199]// 0000000067BC: D3F300C4 0F134D12
	v_mfma_f32_16x16x32_fp8_fp8 v[200:203], a[20:21], v[132:133], v[200:203]// 0000000067C4: D3F300C8 0F230914
	v_mfma_f32_16x16x32_fp8_fp8 v[200:203], a[22:23], v[134:135], v[200:203]// 0000000067CC: D3F300C8 0F230D16
	buffer_load_dwordx4 a[148:151], v43, s[12:15], 0 offen     // 0000000067D4: E05C1000 8083942B
	v_mfma_f32_16x16x32_fp8_fp8 v[204:207], a[20:21], v[164:165], v[204:207]// 0000000067DC: D3F300CC 0F334914
	v_mfma_f32_16x16x32_fp8_fp8 v[204:207], a[22:23], v[166:167], v[204:207]// 0000000067E4: D3F300CC 0F334D16
	v_mfma_f32_16x16x32_fp8_fp8 v[208:211], a[24:25], v[132:133], v[208:211]// 0000000067EC: D3F300D0 0F430918
	v_mfma_f32_16x16x32_fp8_fp8 v[208:211], a[26:27], v[134:135], v[208:211]// 0000000067F4: D3F300D0 0F430D1A
	buffer_load_dwordx4 a[152:155], v44, s[12:15], 0 offen     // 0000000067FC: E05C1000 8083982C
	v_mfma_f32_16x16x32_fp8_fp8 v[212:215], a[24:25], v[164:165], v[212:215]// 000000006804: D3F300D4 0F534918
	v_mfma_f32_16x16x32_fp8_fp8 v[212:215], a[26:27], v[166:167], v[212:215]// 00000000680C: D3F300D4 0F534D1A
	v_mfma_f32_16x16x32_fp8_fp8 v[216:219], a[28:29], v[132:133], v[216:219]// 000000006814: D3F300D8 0F63091C
	v_mfma_f32_16x16x32_fp8_fp8 v[216:219], a[30:31], v[134:135], v[216:219]// 00000000681C: D3F300D8 0F630D1E
	buffer_load_dwordx4 a[156:159], v45, s[12:15], 0 offen     // 000000006824: E05C1000 80839C2D
	s_add_u32 s12, s78, s12                                    // 00000000682C: 800C0C4E
	s_addc_u32 s13, 0, s13                                     // 000000006830: 820D0D80
	v_mfma_f32_16x16x32_fp8_fp8 v[220:223], a[28:29], v[164:165], v[220:223]// 000000006834: D3F300DC 0F73491C
	v_mfma_f32_16x16x32_fp8_fp8 v[220:223], a[30:31], v[166:167], v[220:223]// 00000000683C: D3F300DC 0F734D1E
	s_waitcnt vmcnt(29)                                        // 000000006844: BF8C4F7D
	v_mfma_f32_16x16x32_fp8_fp8 v[192:195], a[32:33], v[136:137], v[192:195]// 000000006848: D3F300C0 0F031120
	ds_write_b64 v3, v[224:225] offset:36096                   // 000000006850: D89A8D00 0000E003
	v_mfma_f32_16x16x32_fp8_fp8 v[192:195], a[34:35], v[138:139], v[192:195]// 000000006858: D3F300C0 0F031522
	buffer_load_dwordx4 a[160:163], v42, s[12:15], 0 offen     // 000000006860: E05C1000 8083A02A
	v_mfma_f32_16x16x32_fp8_fp8 v[196:199], a[32:33], v[168:169], v[196:199]// 000000006868: D3F300C4 0F135120
	ds_write_b64 v3, v[226:227] offset:44800                   // 000000006870: D89AAF00 0000E203
	v_mfma_f32_16x16x32_fp8_fp8 v[196:199], a[34:35], v[170:171], v[196:199]// 000000006878: D3F300C4 0F135522
	v_mfma_f32_16x16x32_fp8_fp8 v[200:203], a[36:37], v[136:137], v[200:203]// 000000006880: D3F300C8 0F231124
	ds_write_b64 v3, v[228:229] offset:38272                   // 000000006888: D89A9580 0000E403
	v_mfma_f32_16x16x32_fp8_fp8 v[200:203], a[38:39], v[138:139], v[200:203]// 000000006890: D3F300C8 0F231526
	buffer_load_dwordx4 a[164:167], v43, s[12:15], 0 offen     // 000000006898: E05C1000 8083A42B
	v_mfma_f32_16x16x32_fp8_fp8 v[204:207], a[36:37], v[168:169], v[204:207]// 0000000068A0: D3F300CC 0F335124
	ds_write_b64 v3, v[230:231] offset:46976                   // 0000000068A8: D89AB780 0000E603
	v_mfma_f32_16x16x32_fp8_fp8 v[204:207], a[38:39], v[170:171], v[204:207]// 0000000068B0: D3F300CC 0F335526
	v_mfma_f32_16x16x32_fp8_fp8 v[208:211], a[40:41], v[136:137], v[208:211]// 0000000068B8: D3F300D0 0F431128
	ds_write_b64 v3, v[232:233] offset:40448                   // 0000000068C0: D89A9E00 0000E803
	v_mfma_f32_16x16x32_fp8_fp8 v[208:211], a[42:43], v[138:139], v[208:211]// 0000000068C8: D3F300D0 0F43152A
	buffer_load_dwordx4 a[168:171], v44, s[12:15], 0 offen     // 0000000068D0: E05C1000 8083A82C
	v_mfma_f32_16x16x32_fp8_fp8 v[212:215], a[40:41], v[168:169], v[212:215]// 0000000068D8: D3F300D4 0F535128
	ds_write_b64 v3, v[234:235] offset:49152                   // 0000000068E0: D89AC000 0000EA03
	v_mfma_f32_16x16x32_fp8_fp8 v[212:215], a[42:43], v[170:171], v[212:215]// 0000000068E8: D3F300D4 0F53552A
	v_mfma_f32_16x16x32_fp8_fp8 v[216:219], a[44:45], v[136:137], v[216:219]// 0000000068F0: D3F300D8 0F63112C
	ds_write_b64 v3, v[236:237] offset:42624                   // 0000000068F8: D89AA680 0000EC03
	v_mfma_f32_16x16x32_fp8_fp8 v[216:219], a[46:47], v[138:139], v[216:219]// 000000006900: D3F300D8 0F63152E
	buffer_load_dwordx4 a[172:175], v45, s[12:15], 0 offen     // 000000006908: E05C1000 8083AC2D
	s_add_u32 s12, s78, s12                                    // 000000006910: 800C0C4E
	s_addc_u32 s13, 0, s13                                     // 000000006914: 820D0D80
	v_mfma_f32_16x16x32_fp8_fp8 v[220:223], a[44:45], v[168:169], v[220:223]// 000000006918: D3F300DC 0F73512C
	ds_write_b64 v3, v[238:239] offset:51328                   // 000000006920: D89AC880 0000EE03
	v_mfma_f32_16x16x32_fp8_fp8 v[220:223], a[46:47], v[170:171], v[220:223]// 000000006928: D3F300DC 0F73552E
	s_waitcnt vmcnt(29)                                        // 000000006930: BF8C4F7D
	v_mfma_f32_16x16x32_fp8_fp8 v[192:195], a[48:49], v[140:141], v[192:195]// 000000006934: D3F300C0 0F031930
	v_mfma_f32_16x16x32_fp8_fp8 v[192:195], a[50:51], v[142:143], v[192:195]// 00000000693C: D3F300C0 0F031D32
	buffer_load_dwordx4 a[176:179], v42, s[12:15], 0 offen     // 000000006944: E05C1000 8083B02A
	v_mfma_f32_16x16x32_fp8_fp8 v[196:199], a[48:49], v[172:173], v[196:199]// 00000000694C: D3F300C4 0F135930
	v_mfma_f32_16x16x32_fp8_fp8 v[196:199], a[50:51], v[174:175], v[196:199]// 000000006954: D3F300C4 0F135D32
	v_mfma_f32_16x16x32_fp8_fp8 v[200:203], a[52:53], v[140:141], v[200:203]// 00000000695C: D3F300C8 0F231934
	v_mfma_f32_16x16x32_fp8_fp8 v[200:203], a[54:55], v[142:143], v[200:203]// 000000006964: D3F300C8 0F231D36
	buffer_load_dwordx4 a[180:183], v43, s[12:15], 0 offen     // 00000000696C: E05C1000 8083B42B
	v_mfma_f32_16x16x32_fp8_fp8 v[204:207], a[52:53], v[172:173], v[204:207]// 000000006974: D3F300CC 0F335934
	v_mfma_f32_16x16x32_fp8_fp8 v[204:207], a[54:55], v[174:175], v[204:207]// 00000000697C: D3F300CC 0F335D36
	v_mfma_f32_16x16x32_fp8_fp8 v[208:211], a[56:57], v[140:141], v[208:211]// 000000006984: D3F300D0 0F431938
	v_mfma_f32_16x16x32_fp8_fp8 v[208:211], a[58:59], v[142:143], v[208:211]// 00000000698C: D3F300D0 0F431D3A
	buffer_load_dwordx4 a[184:187], v44, s[12:15], 0 offen     // 000000006994: E05C1000 8083B82C
	v_mfma_f32_16x16x32_fp8_fp8 v[212:215], a[56:57], v[172:173], v[212:215]// 00000000699C: D3F300D4 0F535938
	v_mfma_f32_16x16x32_fp8_fp8 v[212:215], a[58:59], v[174:175], v[212:215]// 0000000069A4: D3F300D4 0F535D3A
	v_mfma_f32_16x16x32_fp8_fp8 v[216:219], a[60:61], v[140:141], v[216:219]// 0000000069AC: D3F300D8 0F63193C
	v_mfma_f32_16x16x32_fp8_fp8 v[216:219], a[62:63], v[142:143], v[216:219]// 0000000069B4: D3F300D8 0F631D3E
	buffer_load_dwordx4 a[188:191], v45, s[12:15], 0 offen     // 0000000069BC: E05C1000 8083BC2D
	s_add_u32 s12, s78, s12                                    // 0000000069C4: 800C0C4E
	s_addc_u32 s13, 0, s13                                     // 0000000069C8: 820D0D80
	v_mfma_f32_16x16x32_fp8_fp8 v[220:223], a[60:61], v[172:173], v[220:223]// 0000000069CC: D3F300DC 0F73593C
	v_mfma_f32_16x16x32_fp8_fp8 v[220:223], a[62:63], v[174:175], v[220:223]// 0000000069D4: D3F300DC 0F735D3E
	s_waitcnt vmcnt(29)                                        // 0000000069DC: BF8C4F7D
	v_mfma_f32_16x16x32_fp8_fp8 v[192:195], a[64:65], v[144:145], v[192:195]// 0000000069E0: D3F300C0 0F032140
	v_mfma_f32_16x16x32_fp8_fp8 v[192:195], a[66:67], v[146:147], v[192:195]// 0000000069E8: D3F300C0 0F032542
	buffer_load_dwordx4 a[192:195], v42, s[12:15], 0 offen     // 0000000069F0: E05C1000 8083C02A
	v_mfma_f32_16x16x32_fp8_fp8 v[196:199], a[64:65], v[176:177], v[196:199]// 0000000069F8: D3F300C4 0F136140
	v_mfma_f32_16x16x32_fp8_fp8 v[196:199], a[66:67], v[178:179], v[196:199]// 000000006A00: D3F300C4 0F136542
	v_mfma_f32_16x16x32_fp8_fp8 v[200:203], a[68:69], v[144:145], v[200:203]// 000000006A08: D3F300C8 0F232144
	v_mfma_f32_16x16x32_fp8_fp8 v[200:203], a[70:71], v[146:147], v[200:203]// 000000006A10: D3F300C8 0F232546
	buffer_load_dwordx4 a[196:199], v43, s[12:15], 0 offen     // 000000006A18: E05C1000 8083C42B
	v_mfma_f32_16x16x32_fp8_fp8 v[204:207], a[68:69], v[176:177], v[204:207]// 000000006A20: D3F300CC 0F336144
	v_mfma_f32_16x16x32_fp8_fp8 v[204:207], a[70:71], v[178:179], v[204:207]// 000000006A28: D3F300CC 0F336546
	v_mfma_f32_16x16x32_fp8_fp8 v[208:211], a[72:73], v[144:145], v[208:211]// 000000006A30: D3F300D0 0F432148
	v_mfma_f32_16x16x32_fp8_fp8 v[208:211], a[74:75], v[146:147], v[208:211]// 000000006A38: D3F300D0 0F43254A
	buffer_load_dwordx4 a[200:203], v44, s[12:15], 0 offen     // 000000006A40: E05C1000 8083C82C
	v_mfma_f32_16x16x32_fp8_fp8 v[212:215], a[72:73], v[176:177], v[212:215]// 000000006A48: D3F300D4 0F536148
	v_mfma_f32_16x16x32_fp8_fp8 v[212:215], a[74:75], v[178:179], v[212:215]// 000000006A50: D3F300D4 0F53654A
	v_mfma_f32_16x16x32_fp8_fp8 v[216:219], a[76:77], v[144:145], v[216:219]// 000000006A58: D3F300D8 0F63214C
	v_mfma_f32_16x16x32_fp8_fp8 v[216:219], a[78:79], v[146:147], v[216:219]// 000000006A60: D3F300D8 0F63254E
	buffer_load_dwordx4 a[204:207], v45, s[12:15], 0 offen     // 000000006A68: E05C1000 8083CC2D
	s_add_u32 s12, s78, s12                                    // 000000006A70: 800C0C4E
	s_addc_u32 s13, 0, s13                                     // 000000006A74: 820D0D80
	v_mfma_f32_16x16x32_fp8_fp8 v[220:223], a[76:77], v[176:177], v[220:223]// 000000006A78: D3F300DC 0F73614C
	v_mfma_f32_16x16x32_fp8_fp8 v[220:223], a[78:79], v[178:179], v[220:223]// 000000006A80: D3F300DC 0F73654E
	s_waitcnt vmcnt(29)                                        // 000000006A88: BF8C4F7D
	v_mfma_f32_16x16x32_fp8_fp8 v[192:195], a[80:81], v[148:149], v[192:195]// 000000006A8C: D3F300C0 0F032950
	v_mfma_f32_16x16x32_fp8_fp8 v[192:195], a[82:83], v[150:151], v[192:195]// 000000006A94: D3F300C0 0F032D52
	buffer_load_dwordx4 a[208:211], v42, s[12:15], 0 offen     // 000000006A9C: E05C1000 8083D02A
	v_mfma_f32_16x16x32_fp8_fp8 v[196:199], a[80:81], v[180:181], v[196:199]// 000000006AA4: D3F300C4 0F136950
	v_mfma_f32_16x16x32_fp8_fp8 v[196:199], a[82:83], v[182:183], v[196:199]// 000000006AAC: D3F300C4 0F136D52
	v_mfma_f32_16x16x32_fp8_fp8 v[200:203], a[84:85], v[148:149], v[200:203]// 000000006AB4: D3F300C8 0F232954
	v_mfma_f32_16x16x32_fp8_fp8 v[200:203], a[86:87], v[150:151], v[200:203]// 000000006ABC: D3F300C8 0F232D56
	buffer_load_dwordx4 a[212:215], v43, s[12:15], 0 offen     // 000000006AC4: E05C1000 8083D42B
	v_mfma_f32_16x16x32_fp8_fp8 v[204:207], a[84:85], v[180:181], v[204:207]// 000000006ACC: D3F300CC 0F336954
	v_mfma_f32_16x16x32_fp8_fp8 v[204:207], a[86:87], v[182:183], v[204:207]// 000000006AD4: D3F300CC 0F336D56
	v_mfma_f32_16x16x32_fp8_fp8 v[208:211], a[88:89], v[148:149], v[208:211]// 000000006ADC: D3F300D0 0F432958
	v_mfma_f32_16x16x32_fp8_fp8 v[208:211], a[90:91], v[150:151], v[208:211]// 000000006AE4: D3F300D0 0F432D5A
	buffer_load_dwordx4 a[216:219], v44, s[12:15], 0 offen     // 000000006AEC: E05C1000 8083D82C
	v_mfma_f32_16x16x32_fp8_fp8 v[212:215], a[88:89], v[180:181], v[212:215]// 000000006AF4: D3F300D4 0F536958
	v_mfma_f32_16x16x32_fp8_fp8 v[212:215], a[90:91], v[182:183], v[212:215]// 000000006AFC: D3F300D4 0F536D5A
	v_mfma_f32_16x16x32_fp8_fp8 v[216:219], a[92:93], v[148:149], v[216:219]// 000000006B04: D3F300D8 0F63295C
	v_mfma_f32_16x16x32_fp8_fp8 v[216:219], a[94:95], v[150:151], v[216:219]// 000000006B0C: D3F300D8 0F632D5E
	buffer_load_dwordx4 a[220:223], v45, s[12:15], 0 offen     // 000000006B14: E05C1000 8083DC2D
	s_add_u32 s12, s78, s12                                    // 000000006B1C: 800C0C4E
	s_addc_u32 s13, 0, s13                                     // 000000006B20: 820D0D80
	v_mfma_f32_16x16x32_fp8_fp8 v[220:223], a[92:93], v[180:181], v[220:223]// 000000006B24: D3F300DC 0F73695C
	v_mfma_f32_16x16x32_fp8_fp8 v[220:223], a[94:95], v[182:183], v[220:223]// 000000006B2C: D3F300DC 0F736D5E
	s_waitcnt vmcnt(29)                                        // 000000006B34: BF8C4F7D
	v_mfma_f32_16x16x32_fp8_fp8 v[192:195], a[96:97], v[152:153], v[192:195]// 000000006B38: D3F300C0 0F033160
	v_mfma_f32_16x16x32_fp8_fp8 v[192:195], a[98:99], v[154:155], v[192:195]// 000000006B40: D3F300C0 0F033562
	buffer_load_dwordx4 a[224:227], v42, s[12:15], 0 offen     // 000000006B48: E05C1000 8083E02A
	v_mfma_f32_16x16x32_fp8_fp8 v[196:199], a[96:97], v[184:185], v[196:199]// 000000006B50: D3F300C4 0F137160
	v_mfma_f32_16x16x32_fp8_fp8 v[196:199], a[98:99], v[186:187], v[196:199]// 000000006B58: D3F300C4 0F137562
	v_mfma_f32_16x16x32_fp8_fp8 v[200:203], a[100:101], v[152:153], v[200:203]// 000000006B60: D3F300C8 0F233164
	v_mfma_f32_16x16x32_fp8_fp8 v[200:203], a[102:103], v[154:155], v[200:203]// 000000006B68: D3F300C8 0F233566
	buffer_load_dwordx4 a[228:231], v43, s[12:15], 0 offen     // 000000006B70: E05C1000 8083E42B
	v_mfma_f32_16x16x32_fp8_fp8 v[204:207], a[100:101], v[184:185], v[204:207]// 000000006B78: D3F300CC 0F337164
	v_mfma_f32_16x16x32_fp8_fp8 v[204:207], a[102:103], v[186:187], v[204:207]// 000000006B80: D3F300CC 0F337566
	v_mfma_f32_16x16x32_fp8_fp8 v[208:211], a[104:105], v[152:153], v[208:211]// 000000006B88: D3F300D0 0F433168
	v_mfma_f32_16x16x32_fp8_fp8 v[208:211], a[106:107], v[154:155], v[208:211]// 000000006B90: D3F300D0 0F43356A
	buffer_load_dwordx4 a[232:235], v44, s[12:15], 0 offen     // 000000006B98: E05C1000 8083E82C
	v_mfma_f32_16x16x32_fp8_fp8 v[212:215], a[104:105], v[184:185], v[212:215]// 000000006BA0: D3F300D4 0F537168
	v_mfma_f32_16x16x32_fp8_fp8 v[212:215], a[106:107], v[186:187], v[212:215]// 000000006BA8: D3F300D4 0F53756A
	v_mfma_f32_16x16x32_fp8_fp8 v[216:219], a[108:109], v[152:153], v[216:219]// 000000006BB0: D3F300D8 0F63316C
	v_mfma_f32_16x16x32_fp8_fp8 v[216:219], a[110:111], v[154:155], v[216:219]// 000000006BB8: D3F300D8 0F63356E
	buffer_load_dwordx4 a[236:239], v45, s[12:15], 0 offen     // 000000006BC0: E05C1000 8083EC2D
	s_add_u32 s12, s78, s12                                    // 000000006BC8: 800C0C4E
	s_addc_u32 s13, 0, s13                                     // 000000006BCC: 820D0D80
	v_mfma_f32_16x16x32_fp8_fp8 v[220:223], a[108:109], v[184:185], v[220:223]// 000000006BD0: D3F300DC 0F73716C
	v_mfma_f32_16x16x32_fp8_fp8 v[220:223], a[110:111], v[186:187], v[220:223]// 000000006BD8: D3F300DC 0F73756E
	s_waitcnt vmcnt(28)                                        // 000000006BE0: BF8C4F7C
	v_mfma_f32_16x16x32_fp8_fp8 v[192:195], a[112:113], v[156:157], v[192:195]// 000000006BE4: D3F300C0 0F033970
	v_mfma_f32_16x16x32_fp8_fp8 v[192:195], a[114:115], v[158:159], v[192:195]// 000000006BEC: D3F300C0 0F033D72
	buffer_load_dwordx4 a[240:243], v42, s[12:15], 0 offen     // 000000006BF4: E05C1000 8083F02A
	v_mfma_f32_16x16x32_fp8_fp8 v[196:199], a[112:113], v[188:189], v[196:199]// 000000006BFC: D3F300C4 0F137970
	v_mfma_f32_16x16x32_fp8_fp8 v[196:199], a[114:115], v[190:191], v[196:199]// 000000006C04: D3F300C4 0F137D72
	buffer_load_dword v13, v5, s[16:19], 0 offen               // 000000006C0C: E0501000 80040D05
	v_mfma_f32_16x16x32_fp8_fp8 v[200:203], a[116:117], v[156:157], v[200:203]// 000000006C14: D3F300C8 0F233974
	v_mfma_f32_16x16x32_fp8_fp8 v[200:203], a[118:119], v[158:159], v[200:203]// 000000006C1C: D3F300C8 0F233D76
	buffer_load_dwordx4 a[244:247], v43, s[12:15], 0 offen     // 000000006C24: E05C1000 8083F42B
	v_mfma_f32_16x16x32_fp8_fp8 v[204:207], a[116:117], v[188:189], v[204:207]// 000000006C2C: D3F300CC 0F337974
	v_mfma_f32_16x16x32_fp8_fp8 v[204:207], a[118:119], v[190:191], v[204:207]// 000000006C34: D3F300CC 0F337D76
	v_mfma_f32_16x16x32_fp8_fp8 v[208:211], a[120:121], v[156:157], v[208:211]// 000000006C3C: D3F300D0 0F433978
	v_mfma_f32_16x16x32_fp8_fp8 v[208:211], a[122:123], v[158:159], v[208:211]// 000000006C44: D3F300D0 0F433D7A
	buffer_load_dwordx4 a[248:251], v44, s[12:15], 0 offen     // 000000006C4C: E05C1000 8083F82C
	v_mfma_f32_16x16x32_fp8_fp8 v[212:215], a[120:121], v[188:189], v[212:215]// 000000006C54: D3F300D4 0F537978
	v_mfma_f32_16x16x32_fp8_fp8 v[212:215], a[122:123], v[190:191], v[212:215]// 000000006C5C: D3F300D4 0F537D7A
	v_mfma_f32_16x16x32_fp8_fp8 v[216:219], a[124:125], v[156:157], v[216:219]// 000000006C64: D3F300D8 0F63397C
	v_mfma_f32_16x16x32_fp8_fp8 v[216:219], a[126:127], v[158:159], v[216:219]// 000000006C6C: D3F300D8 0F633D7E
	buffer_load_dwordx4 a[252:255], v45, s[12:15], 0 offen     // 000000006C74: E05C1000 8083FC2D
	v_mfma_f32_16x16x32_fp8_fp8 v[220:223], a[124:125], v[188:189], v[220:223]// 000000006C7C: D3F300DC 0F73797C
	v_mfma_f32_16x16x32_fp8_fp8 v[220:223], a[126:127], v[190:191], v[220:223]// 000000006C84: D3F300DC 0F737D7E
	s_add_u32 s60, 0x200, s80                                  // 000000006C8C: 803C50FF 00000200
	s_cmp_lt_u32 s60, s81                                      // 000000006C94: BF0A513C
	s_cselect_b32 s56, s56, 0                                  // 000000006C98: 85388038
	s_cselect_b32 s78, s78, 0                                  // 000000006C9C: 854E804E
	s_cselect_b32 s79, s79, 0                                  // 000000006CA0: 854F804F
	s_add_u32 s12, s56, s12                                    // 000000006CA4: 800C0C38
	s_addc_u32 s13, 0, s13                                     // 000000006CA8: 820D0D80
	s_add_u32 s16, s79, s16                                    // 000000006CAC: 8010104F
	s_addc_u32 s17, 0, s17                                     // 000000006CB0: 82111180
	v_mul_f32_e32 v192, v24, v192                              // 000000006CB4: 0B818118
	v_mul_f32_e32 v193, v24, v193                              // 000000006CB8: 0B838318
	v_mul_f32_e32 v194, v24, v194                              // 000000006CBC: 0B858518
	v_mul_f32_e32 v195, v24, v195                              // 000000006CC0: 0B878718
	v_mul_f32_dpp v192, v12, v192 row_newbcast:0 row_mask:0xf bank_mask:0xf// 000000006CC4: 0B8180FA FF01500C
	v_mul_f32_dpp v193, v12, v193 row_newbcast:1 row_mask:0xf bank_mask:0xf// 000000006CCC: 0B8382FA FF01510C
	v_mul_f32_dpp v194, v12, v194 row_newbcast:2 row_mask:0xf bank_mask:0xf// 000000006CD4: 0B8584FA FF01520C
	v_mul_f32_dpp v195, v12, v195 row_newbcast:3 row_mask:0xf bank_mask:0xf// 000000006CDC: 0B8786FA FF01530C
	v_mul_f32_e32 v192, v20, v192                              // 000000006CE4: 0B818114
	v_mul_f32_e32 v193, v20, v193                              // 000000006CE8: 0B838314
	v_mul_f32_e32 v194, v20, v194                              // 000000006CEC: 0B858514
	v_mul_f32_e32 v195, v20, v195                              // 000000006CF0: 0B878714
	v_mul_f32_e32 v196, v25, v196                              // 000000006CF4: 0B898919
	v_mul_f32_e32 v197, v25, v197                              // 000000006CF8: 0B8B8B19
	v_mul_f32_e32 v198, v25, v198                              // 000000006CFC: 0B8D8D19
	v_mul_f32_e32 v199, v25, v199                              // 000000006D00: 0B8F8F19
	v_mul_f32_dpp v196, v12, v196 row_newbcast:0 row_mask:0xf bank_mask:0xf// 000000006D04: 0B8988FA FF01500C
	v_mul_f32_dpp v197, v12, v197 row_newbcast:1 row_mask:0xf bank_mask:0xf// 000000006D0C: 0B8B8AFA FF01510C
	v_mul_f32_dpp v198, v12, v198 row_newbcast:2 row_mask:0xf bank_mask:0xf// 000000006D14: 0B8D8CFA FF01520C
	v_mul_f32_dpp v199, v12, v199 row_newbcast:3 row_mask:0xf bank_mask:0xf// 000000006D1C: 0B8F8EFA FF01530C
	v_mul_f32_e32 v196, v21, v196                              // 000000006D24: 0B898915
	v_mul_f32_e32 v197, v21, v197                              // 000000006D28: 0B8B8B15
	v_mul_f32_e32 v198, v21, v198                              // 000000006D2C: 0B8D8D15
	v_mul_f32_e32 v199, v21, v199                              // 000000006D30: 0B8F8F15
	v_mul_f32_e32 v200, v24, v200                              // 000000006D34: 0B919118
	v_mul_f32_e32 v201, v24, v201                              // 000000006D38: 0B939318
	v_mul_f32_e32 v202, v24, v202                              // 000000006D3C: 0B959518
	v_mul_f32_e32 v203, v24, v203                              // 000000006D40: 0B979718
	v_mul_f32_dpp v200, v12, v200 row_newbcast:4 row_mask:0xf bank_mask:0xf// 000000006D44: 0B9190FA FF01540C
	v_mul_f32_dpp v201, v12, v201 row_newbcast:5 row_mask:0xf bank_mask:0xf// 000000006D4C: 0B9392FA FF01550C
	v_mul_f32_dpp v202, v12, v202 row_newbcast:6 row_mask:0xf bank_mask:0xf// 000000006D54: 0B9594FA FF01560C
	v_mul_f32_dpp v203, v12, v203 row_newbcast:7 row_mask:0xf bank_mask:0xf// 000000006D5C: 0B9796FA FF01570C
	v_mul_f32_e32 v200, v20, v200                              // 000000006D64: 0B919114
	v_mul_f32_e32 v201, v20, v201                              // 000000006D68: 0B939314
	v_mul_f32_e32 v202, v20, v202                              // 000000006D6C: 0B959514
	v_mul_f32_e32 v203, v20, v203                              // 000000006D70: 0B979714
	v_mul_f32_e32 v204, v25, v204                              // 000000006D74: 0B999919
	v_mul_f32_e32 v205, v25, v205                              // 000000006D78: 0B9B9B19
	v_mul_f32_e32 v206, v25, v206                              // 000000006D7C: 0B9D9D19
	v_mul_f32_e32 v207, v25, v207                              // 000000006D80: 0B9F9F19
	v_mul_f32_dpp v204, v12, v204 row_newbcast:4 row_mask:0xf bank_mask:0xf// 000000006D84: 0B9998FA FF01540C
	v_mul_f32_dpp v205, v12, v205 row_newbcast:5 row_mask:0xf bank_mask:0xf// 000000006D8C: 0B9B9AFA FF01550C
	v_mul_f32_dpp v206, v12, v206 row_newbcast:6 row_mask:0xf bank_mask:0xf// 000000006D94: 0B9D9CFA FF01560C
	v_mul_f32_dpp v207, v12, v207 row_newbcast:7 row_mask:0xf bank_mask:0xf// 000000006D9C: 0B9F9EFA FF01570C
	v_mul_f32_e32 v204, v21, v204                              // 000000006DA4: 0B999915
	v_mul_f32_e32 v205, v21, v205                              // 000000006DA8: 0B9B9B15
	v_mul_f32_e32 v206, v21, v206                              // 000000006DAC: 0B9D9D15
	v_mul_f32_e32 v207, v21, v207                              // 000000006DB0: 0B9F9F15
	v_mul_f32_e32 v208, v24, v208                              // 000000006DB4: 0BA1A118
	v_mul_f32_e32 v209, v24, v209                              // 000000006DB8: 0BA3A318
	v_mul_f32_e32 v210, v24, v210                              // 000000006DBC: 0BA5A518
	v_mul_f32_e32 v211, v24, v211                              // 000000006DC0: 0BA7A718
	v_mul_f32_dpp v208, v12, v208 row_newbcast:8 row_mask:0xf bank_mask:0xf// 000000006DC4: 0BA1A0FA FF01580C
	v_mul_f32_dpp v209, v12, v209 row_newbcast:9 row_mask:0xf bank_mask:0xf// 000000006DCC: 0BA3A2FA FF01590C
	v_mul_f32_dpp v210, v12, v210 row_newbcast:10 row_mask:0xf bank_mask:0xf// 000000006DD4: 0BA5A4FA FF015A0C
	v_mul_f32_dpp v211, v12, v211 row_newbcast:11 row_mask:0xf bank_mask:0xf// 000000006DDC: 0BA7A6FA FF015B0C
	v_mul_f32_e32 v208, v20, v208                              // 000000006DE4: 0BA1A114
	v_mul_f32_e32 v209, v20, v209                              // 000000006DE8: 0BA3A314
	v_mul_f32_e32 v210, v20, v210                              // 000000006DEC: 0BA5A514
	v_mul_f32_e32 v211, v20, v211                              // 000000006DF0: 0BA7A714
	v_mul_f32_e32 v212, v25, v212                              // 000000006DF4: 0BA9A919
	v_mul_f32_e32 v213, v25, v213                              // 000000006DF8: 0BABAB19
	v_mul_f32_e32 v214, v25, v214                              // 000000006DFC: 0BADAD19
	v_mul_f32_e32 v215, v25, v215                              // 000000006E00: 0BAFAF19
	v_mul_f32_dpp v212, v12, v212 row_newbcast:8 row_mask:0xf bank_mask:0xf// 000000006E04: 0BA9A8FA FF01580C
	v_mul_f32_dpp v213, v12, v213 row_newbcast:9 row_mask:0xf bank_mask:0xf// 000000006E0C: 0BABAAFA FF01590C
	v_mul_f32_dpp v214, v12, v214 row_newbcast:10 row_mask:0xf bank_mask:0xf// 000000006E14: 0BADACFA FF015A0C
	v_mul_f32_dpp v215, v12, v215 row_newbcast:11 row_mask:0xf bank_mask:0xf// 000000006E1C: 0BAFAEFA FF015B0C
	v_mul_f32_e32 v212, v21, v212                              // 000000006E24: 0BA9A915
	v_mul_f32_e32 v213, v21, v213                              // 000000006E28: 0BABAB15
	v_mul_f32_e32 v214, v21, v214                              // 000000006E2C: 0BADAD15
	v_mul_f32_e32 v215, v21, v215                              // 000000006E30: 0BAFAF15
	v_mul_f32_e32 v216, v24, v216                              // 000000006E34: 0BB1B118
	v_mul_f32_e32 v217, v24, v217                              // 000000006E38: 0BB3B318
	v_mul_f32_e32 v218, v24, v218                              // 000000006E3C: 0BB5B518
	v_mul_f32_e32 v219, v24, v219                              // 000000006E40: 0BB7B718
	v_mul_f32_dpp v216, v12, v216 row_newbcast:12 row_mask:0xf bank_mask:0xf// 000000006E44: 0BB1B0FA FF015C0C
	v_mul_f32_dpp v217, v12, v217 row_newbcast:13 row_mask:0xf bank_mask:0xf// 000000006E4C: 0BB3B2FA FF015D0C
	v_mul_f32_dpp v218, v12, v218 row_newbcast:14 row_mask:0xf bank_mask:0xf// 000000006E54: 0BB5B4FA FF015E0C
	v_mul_f32_dpp v219, v12, v219 row_newbcast:15 row_mask:0xf bank_mask:0xf// 000000006E5C: 0BB7B6FA FF015F0C
	v_mul_f32_e32 v216, v20, v216                              // 000000006E64: 0BB1B114
	v_mul_f32_e32 v217, v20, v217                              // 000000006E68: 0BB3B314
	v_mul_f32_e32 v218, v20, v218                              // 000000006E6C: 0BB5B514
	v_mul_f32_e32 v219, v20, v219                              // 000000006E70: 0BB7B714
	v_mul_f32_e32 v220, v25, v220                              // 000000006E74: 0BB9B919
	v_mul_f32_e32 v221, v25, v221                              // 000000006E78: 0BBBBB19
	v_mul_f32_e32 v222, v25, v222                              // 000000006E7C: 0BBDBD19
	v_mul_f32_e32 v223, v25, v223                              // 000000006E80: 0BBFBF19
	v_mul_f32_dpp v220, v12, v220 row_newbcast:12 row_mask:0xf bank_mask:0xf// 000000006E84: 0BB9B8FA FF015C0C
	v_mul_f32_dpp v221, v12, v221 row_newbcast:13 row_mask:0xf bank_mask:0xf// 000000006E8C: 0BBBBAFA FF015D0C
	v_mul_f32_dpp v222, v12, v222 row_newbcast:14 row_mask:0xf bank_mask:0xf// 000000006E94: 0BBDBCFA FF015E0C
	v_mul_f32_dpp v223, v12, v223 row_newbcast:15 row_mask:0xf bank_mask:0xf// 000000006E9C: 0BBFBEFA FF015F0C
	v_mul_f32_e32 v220, v21, v220                              // 000000006EA4: 0BB9B915
	v_mul_f32_e32 v221, v21, v221                              // 000000006EA8: 0BBBBB15
	v_mul_f32_e32 v222, v21, v222                              // 000000006EAC: 0BBDBD15
	v_mul_f32_e32 v223, v21, v223                              // 000000006EB0: 0BBFBF15
	v_cvt_pkrtz_f16_f32 v192, v192, v193                       // 000000006EB4: D29600C0 000383C0
	v_cvt_pkrtz_f16_f32 v193, v194, v195                       // 000000006EBC: D29600C1 000387C2
	v_cvt_pkrtz_f16_f32 v194, v196, v197                       // 000000006EC4: D29600C2 00038BC4
	v_cvt_pkrtz_f16_f32 v195, v198, v199                       // 000000006ECC: D29600C3 00038FC6
	v_cvt_pkrtz_f16_f32 v196, v200, v201                       // 000000006ED4: D29600C4 000393C8
	v_cvt_pkrtz_f16_f32 v197, v202, v203                       // 000000006EDC: D29600C5 000397CA
	v_cvt_pkrtz_f16_f32 v198, v204, v205                       // 000000006EE4: D29600C6 00039BCC
	v_cvt_pkrtz_f16_f32 v199, v206, v207                       // 000000006EEC: D29600C7 00039FCE
	v_cvt_pkrtz_f16_f32 v200, v208, v209                       // 000000006EF4: D29600C8 0003A3D0
	v_cvt_pkrtz_f16_f32 v201, v210, v211                       // 000000006EFC: D29600C9 0003A7D2
	v_cvt_pkrtz_f16_f32 v202, v212, v213                       // 000000006F04: D29600CA 0003ABD4
	v_cvt_pkrtz_f16_f32 v203, v214, v215                       // 000000006F0C: D29600CB 0003AFD6
	v_cvt_pkrtz_f16_f32 v204, v216, v217                       // 000000006F14: D29600CC 0003B3D8
	v_cvt_pkrtz_f16_f32 v205, v218, v219                       // 000000006F1C: D29600CD 0003B7DA
	v_cvt_pkrtz_f16_f32 v206, v220, v221                       // 000000006F24: D29600CE 0003BBDC
	v_cvt_pkrtz_f16_f32 v207, v222, v223                       // 000000006F2C: D29600CF 0003BFDE
	s_cmp_ge_u32 s80, 0x200                                    // 000000006F34: BF09FF50 00000200
	s_cselect_b32 s59, 0x200, s59                              // 000000006F3C: 853B3BFF 00000200
	s_setvskip s20, 0                                          // 000000006F44: BF108014
	global_atomic_pk_add_f16 v80, v64, s[8:9]                  // 000000006F48: DD388000 00084050
	s_setvskip 0, 0                                            // 000000006F50: BF108080
	s_setvskip s20, 0                                          // 000000006F54: BF108014
	global_atomic_pk_add_f16 v80, v65, s[8:9] offset:256       // 000000006F58: DD388100 00084150
	s_setvskip 0, 0                                            // 000000006F60: BF108080
	s_setvskip s20, 1                                          // 000000006F64: BF108114
	global_atomic_pk_add_f16 v82, v66, s[8:9]                  // 000000006F68: DD388000 00084252
	s_setvskip 0, 0                                            // 000000006F70: BF108080
	s_setvskip s20, 1                                          // 000000006F74: BF108114
	global_atomic_pk_add_f16 v82, v67, s[8:9] offset:256       // 000000006F78: DD388100 00084352
	s_setvskip 0, 0                                            // 000000006F80: BF108080
	s_setvskip s20, 2                                          // 000000006F84: BF108214
	global_atomic_pk_add_f16 v84, v68, s[8:9]                  // 000000006F88: DD388000 00084454
	s_setvskip 0, 0                                            // 000000006F90: BF108080
	s_setvskip s20, 2                                          // 000000006F94: BF108214
	global_atomic_pk_add_f16 v84, v69, s[8:9] offset:256       // 000000006F98: DD388100 00084554
	s_setvskip 0, 0                                            // 000000006FA0: BF108080
	s_setvskip s20, 3                                          // 000000006FA4: BF108314
	global_atomic_pk_add_f16 v86, v70, s[8:9]                  // 000000006FA8: DD388000 00084656
	s_setvskip 0, 0                                            // 000000006FB0: BF108080
	s_setvskip s20, 3                                          // 000000006FB4: BF108314
	global_atomic_pk_add_f16 v86, v71, s[8:9] offset:256       // 000000006FB8: DD388100 00084756
	s_setvskip 0, 0                                            // 000000006FC0: BF108080
	s_setvskip s20, 4                                          // 000000006FC4: BF108414
	global_atomic_pk_add_f16 v88, v72, s[8:9]                  // 000000006FC8: DD388000 00084858
	s_setvskip 0, 0                                            // 000000006FD0: BF108080
	s_setvskip s20, 4                                          // 000000006FD4: BF108414
	global_atomic_pk_add_f16 v88, v73, s[8:9] offset:256       // 000000006FD8: DD388100 00084958
	s_setvskip 0, 0                                            // 000000006FE0: BF108080
	s_setvskip s20, 5                                          // 000000006FE4: BF108514
	global_atomic_pk_add_f16 v90, v74, s[8:9]                  // 000000006FE8: DD388000 00084A5A
	s_setvskip 0, 0                                            // 000000006FF0: BF108080
	s_setvskip s20, 5                                          // 000000006FF4: BF108514
	global_atomic_pk_add_f16 v90, v75, s[8:9] offset:256       // 000000006FF8: DD388100 00084B5A
	s_setvskip 0, 0                                            // 000000007000: BF108080
	s_setvskip s20, 6                                          // 000000007004: BF108614
	global_atomic_pk_add_f16 v92, v76, s[8:9]                  // 000000007008: DD388000 00084C5C
	s_setvskip 0, 0                                            // 000000007010: BF108080
	s_setvskip s20, 6                                          // 000000007014: BF108614
	global_atomic_pk_add_f16 v92, v77, s[8:9] offset:256       // 000000007018: DD388100 00084D5C
	s_setvskip 0, 0                                            // 000000007020: BF108080
	s_setvskip s20, 7                                          // 000000007024: BF108714
	global_atomic_pk_add_f16 v94, v78, s[8:9]                  // 000000007028: DD388000 00084E5E
	s_setvskip 0, 0                                            // 000000007030: BF108080
	s_setvskip s20, 7                                          // 000000007034: BF108714
	global_atomic_pk_add_f16 v94, v79, s[8:9] offset:256       // 000000007038: DD388100 00084F5E
	s_setvskip 0, 0                                            // 000000007040: BF108080
	s_add_u32 s8, s59, s8                                      // 000000007044: 8008083B
	s_addc_u32 s9, 0, s9                                       // 000000007048: 82090980
	s_addk_i32 s80, 0x100                                      // 00000000704C: B7500100
	s_cmp_lt_i32 s80, s81                                      // 000000007050: BF045150
	s_cbranch_scc0 label_1313                                  // 000000007054: BF84027D
	s_waitcnt vmcnt(29) lgkmcnt(0)                             // 000000007058: BF8C407D
	s_barrier                                                  // 00000000705C: BF8A0000
	v_mfma_f32_16x16x32_fp8_fp8 v[224:227], a[128:129], v[128:129], 0// 000000007060: D3F300E0 0A030180
	ds_read_b32 v64, v4 offset:36096                           // 000000007068: D86C8D00 40000004
	ds_read_b32 v65, v4 offset:40448                           // 000000007070: D86C9E00 41000004
	v_mfma_f32_16x16x32_fp8_fp8 v[224:227], a[130:131], v[130:131], v[224:227]// 000000007078: D3F300E0 0F830582
	buffer_load_dwordx4 a[0:3], v42, s[12:15], 0 offen         // 000000007080: E05C1000 8083002A
	v_mfma_f32_16x16x32_fp8_fp8 v[228:231], a[128:129], v[160:161], 0// 000000007088: D3F300E4 0A034180
	ds_read_b32 v66, v4 offset:36128                           // 000000007090: D86C8D20 42000004
	ds_read_b32 v67, v4 offset:40480                           // 000000007098: D86C9E20 43000004
	v_mfma_f32_16x16x32_fp8_fp8 v[228:231], a[130:131], v[162:163], v[228:231]// 0000000070A0: D3F300E4 0F934582
	v_mfma_f32_16x16x32_fp8_fp8 v[232:235], a[132:133], v[128:129], 0// 0000000070A8: D3F300E8 0A030184
	ds_read_b32 v68, v4 offset:36160                           // 0000000070B0: D86C8D40 44000004
	ds_read_b32 v69, v4 offset:40512                           // 0000000070B8: D86C9E40 45000004
	v_mfma_f32_16x16x32_fp8_fp8 v[232:235], a[134:135], v[130:131], v[232:235]// 0000000070C0: D3F300E8 0FA30586
	buffer_load_dwordx4 a[4:7], v43, s[12:15], 0 offen         // 0000000070C8: E05C1000 8083042B
	v_mfma_f32_16x16x32_fp8_fp8 v[236:239], a[132:133], v[160:161], 0// 0000000070D0: D3F300EC 0A034184
	ds_read_b32 v70, v4 offset:36192                           // 0000000070D8: D86C8D60 46000004
	ds_read_b32 v71, v4 offset:40544                           // 0000000070E0: D86C9E60 47000004
	v_mfma_f32_16x16x32_fp8_fp8 v[236:239], a[134:135], v[162:163], v[236:239]// 0000000070E8: D3F300EC 0FB34586
	v_mfma_f32_16x16x32_fp8_fp8 v[240:243], a[136:137], v[128:129], 0// 0000000070F0: D3F300F0 0A030188
	ds_read_b32 v72, v4 offset:44800                           // 0000000070F8: D86CAF00 48000004
	ds_read_b32 v73, v4 offset:49152                           // 000000007100: D86CC000 49000004
	v_mfma_f32_16x16x32_fp8_fp8 v[240:243], a[138:139], v[130:131], v[240:243]// 000000007108: D3F300F0 0FC3058A
	buffer_load_dwordx4 a[8:11], v44, s[12:15], 0 offen        // 000000007110: E05C1000 8083082C
	v_mfma_f32_16x16x32_fp8_fp8 v[244:247], a[136:137], v[160:161], 0// 000000007118: D3F300F4 0A034188
	ds_read_b32 v74, v4 offset:44832                           // 000000007120: D86CAF20 4A000004
	ds_read_b32 v75, v4 offset:49184                           // 000000007128: D86CC020 4B000004
	v_mfma_f32_16x16x32_fp8_fp8 v[244:247], a[138:139], v[162:163], v[244:247]// 000000007130: D3F300F4 0FD3458A
	v_mfma_f32_16x16x32_fp8_fp8 v[248:251], a[140:141], v[128:129], 0// 000000007138: D3F300F8 0A03018C
	ds_read_b32 v76, v4 offset:44864                           // 000000007140: D86CAF40 4C000004
	ds_read_b32 v77, v4 offset:49216                           // 000000007148: D86CC040 4D000004
	v_mfma_f32_16x16x32_fp8_fp8 v[248:251], a[142:143], v[130:131], v[248:251]// 000000007150: D3F300F8 0FE3058E
	buffer_load_dwordx4 a[12:15], v45, s[12:15], 0 offen       // 000000007158: E05C1000 80830C2D
	s_add_u32 s12, s78, s12                                    // 000000007160: 800C0C4E
	s_addc_u32 s13, 0, s13                                     // 000000007164: 820D0D80
	v_mfma_f32_16x16x32_fp8_fp8 v[252:255], a[140:141], v[160:161], 0// 000000007168: D3F300FC 0A03418C
	ds_read_b32 v78, v4 offset:44896                           // 000000007170: D86CAF60 4E000004
	ds_read_b32 v79, v4 offset:49248                           // 000000007178: D86CC060 4F000004
	v_mfma_f32_16x16x32_fp8_fp8 v[252:255], a[142:143], v[162:163], v[252:255]// 000000007180: D3F300FC 0FF3458E
	s_waitcnt vmcnt(29)                                        // 000000007188: BF8C4F7D
	v_mfma_f32_16x16x32_fp8_fp8 v[224:227], a[144:145], v[132:133], v[224:227]// 00000000718C: D3F300E0 0F830990
	v_mfma_f32_16x16x32_fp8_fp8 v[224:227], a[146:147], v[134:135], v[224:227]// 000000007194: D3F300E0 0F830D92
	buffer_load_dwordx4 a[16:19], v42, s[12:15], 0 offen       // 00000000719C: E05C1000 8083102A
	v_mfma_f32_16x16x32_fp8_fp8 v[228:231], a[144:145], v[164:165], v[228:231]// 0000000071A4: D3F300E4 0F934990
	v_mfma_f32_16x16x32_fp8_fp8 v[228:231], a[146:147], v[166:167], v[228:231]// 0000000071AC: D3F300E4 0F934D92
	v_mfma_f32_16x16x32_fp8_fp8 v[232:235], a[148:149], v[132:133], v[232:235]// 0000000071B4: D3F300E8 0FA30994
	v_mfma_f32_16x16x32_fp8_fp8 v[232:235], a[150:151], v[134:135], v[232:235]// 0000000071BC: D3F300E8 0FA30D96
	buffer_load_dwordx4 a[20:23], v43, s[12:15], 0 offen       // 0000000071C4: E05C1000 8083142B
	v_mfma_f32_16x16x32_fp8_fp8 v[236:239], a[148:149], v[164:165], v[236:239]// 0000000071CC: D3F300EC 0FB34994
	v_mfma_f32_16x16x32_fp8_fp8 v[236:239], a[150:151], v[166:167], v[236:239]// 0000000071D4: D3F300EC 0FB34D96
	v_mfma_f32_16x16x32_fp8_fp8 v[240:243], a[152:153], v[132:133], v[240:243]// 0000000071DC: D3F300F0 0FC30998
	v_mfma_f32_16x16x32_fp8_fp8 v[240:243], a[154:155], v[134:135], v[240:243]// 0000000071E4: D3F300F0 0FC30D9A
	buffer_load_dwordx4 a[24:27], v44, s[12:15], 0 offen       // 0000000071EC: E05C1000 8083182C
	v_mfma_f32_16x16x32_fp8_fp8 v[244:247], a[152:153], v[164:165], v[244:247]// 0000000071F4: D3F300F4 0FD34998
	v_mfma_f32_16x16x32_fp8_fp8 v[244:247], a[154:155], v[166:167], v[244:247]// 0000000071FC: D3F300F4 0FD34D9A
	v_mfma_f32_16x16x32_fp8_fp8 v[248:251], a[156:157], v[132:133], v[248:251]// 000000007204: D3F300F8 0FE3099C
	v_mfma_f32_16x16x32_fp8_fp8 v[248:251], a[158:159], v[134:135], v[248:251]// 00000000720C: D3F300F8 0FE30D9E
	buffer_load_dwordx4 a[28:31], v45, s[12:15], 0 offen       // 000000007214: E05C1000 80831C2D
	s_add_u32 s12, s78, s12                                    // 00000000721C: 800C0C4E
	s_addc_u32 s13, 0, s13                                     // 000000007220: 820D0D80
	v_mfma_f32_16x16x32_fp8_fp8 v[252:255], a[156:157], v[164:165], v[252:255]// 000000007224: D3F300FC 0FF3499C
	v_mfma_f32_16x16x32_fp8_fp8 v[252:255], a[158:159], v[166:167], v[252:255]// 00000000722C: D3F300FC 0FF34D9E
	s_waitcnt vmcnt(29)                                        // 000000007234: BF8C4F7D
	v_mfma_f32_16x16x32_fp8_fp8 v[224:227], a[160:161], v[136:137], v[224:227]// 000000007238: D3F300E0 0F8311A0
	ds_write_b64 v3, v[192:193] offset:18688                   // 000000007240: D89A4900 0000C003
	v_mfma_f32_16x16x32_fp8_fp8 v[224:227], a[162:163], v[138:139], v[224:227]// 000000007248: D3F300E0 0F8315A2
	buffer_load_dwordx4 a[32:35], v42, s[12:15], 0 offen       // 000000007250: E05C1000 8083202A
	v_mfma_f32_16x16x32_fp8_fp8 v[228:231], a[160:161], v[168:169], v[228:231]// 000000007258: D3F300E4 0F9351A0
	ds_write_b64 v3, v[194:195] offset:27392                   // 000000007260: D89A6B00 0000C203
	v_mfma_f32_16x16x32_fp8_fp8 v[228:231], a[162:163], v[170:171], v[228:231]// 000000007268: D3F300E4 0F9355A2
	v_mfma_f32_16x16x32_fp8_fp8 v[232:235], a[164:165], v[136:137], v[232:235]// 000000007270: D3F300E8 0FA311A4
	ds_write_b64 v3, v[196:197] offset:20864                   // 000000007278: D89A5180 0000C403
	v_mfma_f32_16x16x32_fp8_fp8 v[232:235], a[166:167], v[138:139], v[232:235]// 000000007280: D3F300E8 0FA315A6
	buffer_load_dwordx4 a[36:39], v43, s[12:15], 0 offen       // 000000007288: E05C1000 8083242B
	v_mfma_f32_16x16x32_fp8_fp8 v[236:239], a[164:165], v[168:169], v[236:239]// 000000007290: D3F300EC 0FB351A4
	ds_write_b64 v3, v[198:199] offset:29568                   // 000000007298: D89A7380 0000C603
	v_mfma_f32_16x16x32_fp8_fp8 v[236:239], a[166:167], v[170:171], v[236:239]// 0000000072A0: D3F300EC 0FB355A6
	v_mfma_f32_16x16x32_fp8_fp8 v[240:243], a[168:169], v[136:137], v[240:243]// 0000000072A8: D3F300F0 0FC311A8
	ds_write_b64 v3, v[200:201] offset:23040                   // 0000000072B0: D89A5A00 0000C803
	v_mfma_f32_16x16x32_fp8_fp8 v[240:243], a[170:171], v[138:139], v[240:243]// 0000000072B8: D3F300F0 0FC315AA
	buffer_load_dwordx4 a[40:43], v44, s[12:15], 0 offen       // 0000000072C0: E05C1000 8083282C
	v_mfma_f32_16x16x32_fp8_fp8 v[244:247], a[168:169], v[168:169], v[244:247]// 0000000072C8: D3F300F4 0FD351A8
	ds_write_b64 v3, v[202:203] offset:31744                   // 0000000072D0: D89A7C00 0000CA03
	v_mfma_f32_16x16x32_fp8_fp8 v[244:247], a[170:171], v[170:171], v[244:247]// 0000000072D8: D3F300F4 0FD355AA
	v_mfma_f32_16x16x32_fp8_fp8 v[248:251], a[172:173], v[136:137], v[248:251]// 0000000072E0: D3F300F8 0FE311AC
	ds_write_b64 v3, v[204:205] offset:25216                   // 0000000072E8: D89A6280 0000CC03
	v_mfma_f32_16x16x32_fp8_fp8 v[248:251], a[174:175], v[138:139], v[248:251]// 0000000072F0: D3F300F8 0FE315AE
	buffer_load_dwordx4 a[44:47], v45, s[12:15], 0 offen       // 0000000072F8: E05C1000 80832C2D
	s_add_u32 s12, s78, s12                                    // 000000007300: 800C0C4E
	s_addc_u32 s13, 0, s13                                     // 000000007304: 820D0D80
	v_mfma_f32_16x16x32_fp8_fp8 v[252:255], a[172:173], v[168:169], v[252:255]// 000000007308: D3F300FC 0FF351AC
	ds_write_b64 v3, v[206:207] offset:33920                   // 000000007310: D89A8480 0000CE03
	v_mfma_f32_16x16x32_fp8_fp8 v[252:255], a[174:175], v[170:171], v[252:255]// 000000007318: D3F300FC 0FF355AE
	s_waitcnt vmcnt(29)                                        // 000000007320: BF8C4F7D
	v_mfma_f32_16x16x32_fp8_fp8 v[224:227], a[176:177], v[140:141], v[224:227]// 000000007324: D3F300E0 0F8319B0
	v_mfma_f32_16x16x32_fp8_fp8 v[224:227], a[178:179], v[142:143], v[224:227]// 00000000732C: D3F300E0 0F831DB2
	buffer_load_dwordx4 a[48:51], v42, s[12:15], 0 offen       // 000000007334: E05C1000 8083302A
	v_mfma_f32_16x16x32_fp8_fp8 v[228:231], a[176:177], v[172:173], v[228:231]// 00000000733C: D3F300E4 0F9359B0
	v_mfma_f32_16x16x32_fp8_fp8 v[228:231], a[178:179], v[174:175], v[228:231]// 000000007344: D3F300E4 0F935DB2
	v_mfma_f32_16x16x32_fp8_fp8 v[232:235], a[180:181], v[140:141], v[232:235]// 00000000734C: D3F300E8 0FA319B4
	v_mfma_f32_16x16x32_fp8_fp8 v[232:235], a[182:183], v[142:143], v[232:235]// 000000007354: D3F300E8 0FA31DB6
	buffer_load_dwordx4 a[52:55], v43, s[12:15], 0 offen       // 00000000735C: E05C1000 8083342B
	v_mfma_f32_16x16x32_fp8_fp8 v[236:239], a[180:181], v[172:173], v[236:239]// 000000007364: D3F300EC 0FB359B4
	v_mfma_f32_16x16x32_fp8_fp8 v[236:239], a[182:183], v[174:175], v[236:239]// 00000000736C: D3F300EC 0FB35DB6
	v_mfma_f32_16x16x32_fp8_fp8 v[240:243], a[184:185], v[140:141], v[240:243]// 000000007374: D3F300F0 0FC319B8
	v_mfma_f32_16x16x32_fp8_fp8 v[240:243], a[186:187], v[142:143], v[240:243]// 00000000737C: D3F300F0 0FC31DBA
	buffer_load_dwordx4 a[56:59], v44, s[12:15], 0 offen       // 000000007384: E05C1000 8083382C
	v_mfma_f32_16x16x32_fp8_fp8 v[244:247], a[184:185], v[172:173], v[244:247]// 00000000738C: D3F300F4 0FD359B8
	v_mfma_f32_16x16x32_fp8_fp8 v[244:247], a[186:187], v[174:175], v[244:247]// 000000007394: D3F300F4 0FD35DBA
	v_mfma_f32_16x16x32_fp8_fp8 v[248:251], a[188:189], v[140:141], v[248:251]// 00000000739C: D3F300F8 0FE319BC
	v_mfma_f32_16x16x32_fp8_fp8 v[248:251], a[190:191], v[142:143], v[248:251]// 0000000073A4: D3F300F8 0FE31DBE
	buffer_load_dwordx4 a[60:63], v45, s[12:15], 0 offen       // 0000000073AC: E05C1000 80833C2D
	s_add_u32 s12, s78, s12                                    // 0000000073B4: 800C0C4E
	s_addc_u32 s13, 0, s13                                     // 0000000073B8: 820D0D80
	v_mfma_f32_16x16x32_fp8_fp8 v[252:255], a[188:189], v[172:173], v[252:255]// 0000000073BC: D3F300FC 0FF359BC
	v_mfma_f32_16x16x32_fp8_fp8 v[252:255], a[190:191], v[174:175], v[252:255]// 0000000073C4: D3F300FC 0FF35DBE
	s_waitcnt vmcnt(29)                                        // 0000000073CC: BF8C4F7D
	v_mfma_f32_16x16x32_fp8_fp8 v[224:227], a[192:193], v[144:145], v[224:227]// 0000000073D0: D3F300E0 0F8321C0
	v_mfma_f32_16x16x32_fp8_fp8 v[224:227], a[194:195], v[146:147], v[224:227]// 0000000073D8: D3F300E0 0F8325C2
	buffer_load_dwordx4 a[64:67], v42, s[12:15], 0 offen       // 0000000073E0: E05C1000 8083402A
	v_mfma_f32_16x16x32_fp8_fp8 v[228:231], a[192:193], v[176:177], v[228:231]// 0000000073E8: D3F300E4 0F9361C0
	v_mfma_f32_16x16x32_fp8_fp8 v[228:231], a[194:195], v[178:179], v[228:231]// 0000000073F0: D3F300E4 0F9365C2
	v_mfma_f32_16x16x32_fp8_fp8 v[232:235], a[196:197], v[144:145], v[232:235]// 0000000073F8: D3F300E8 0FA321C4
	v_mfma_f32_16x16x32_fp8_fp8 v[232:235], a[198:199], v[146:147], v[232:235]// 000000007400: D3F300E8 0FA325C6
	buffer_load_dwordx4 a[68:71], v43, s[12:15], 0 offen       // 000000007408: E05C1000 8083442B
	v_mfma_f32_16x16x32_fp8_fp8 v[236:239], a[196:197], v[176:177], v[236:239]// 000000007410: D3F300EC 0FB361C4
	v_mfma_f32_16x16x32_fp8_fp8 v[236:239], a[198:199], v[178:179], v[236:239]// 000000007418: D3F300EC 0FB365C6
	v_mfma_f32_16x16x32_fp8_fp8 v[240:243], a[200:201], v[144:145], v[240:243]// 000000007420: D3F300F0 0FC321C8
	v_mfma_f32_16x16x32_fp8_fp8 v[240:243], a[202:203], v[146:147], v[240:243]// 000000007428: D3F300F0 0FC325CA
	buffer_load_dwordx4 a[72:75], v44, s[12:15], 0 offen       // 000000007430: E05C1000 8083482C
	v_mfma_f32_16x16x32_fp8_fp8 v[244:247], a[200:201], v[176:177], v[244:247]// 000000007438: D3F300F4 0FD361C8
	v_mfma_f32_16x16x32_fp8_fp8 v[244:247], a[202:203], v[178:179], v[244:247]// 000000007440: D3F300F4 0FD365CA
	v_mfma_f32_16x16x32_fp8_fp8 v[248:251], a[204:205], v[144:145], v[248:251]// 000000007448: D3F300F8 0FE321CC
	v_mfma_f32_16x16x32_fp8_fp8 v[248:251], a[206:207], v[146:147], v[248:251]// 000000007450: D3F300F8 0FE325CE
	buffer_load_dwordx4 a[76:79], v45, s[12:15], 0 offen       // 000000007458: E05C1000 80834C2D
	s_add_u32 s12, s78, s12                                    // 000000007460: 800C0C4E
	s_addc_u32 s13, 0, s13                                     // 000000007464: 820D0D80
	v_mfma_f32_16x16x32_fp8_fp8 v[252:255], a[204:205], v[176:177], v[252:255]// 000000007468: D3F300FC 0FF361CC
	v_mfma_f32_16x16x32_fp8_fp8 v[252:255], a[206:207], v[178:179], v[252:255]// 000000007470: D3F300FC 0FF365CE
	s_waitcnt vmcnt(29)                                        // 000000007478: BF8C4F7D
	v_mfma_f32_16x16x32_fp8_fp8 v[224:227], a[208:209], v[148:149], v[224:227]// 00000000747C: D3F300E0 0F8329D0
	v_mfma_f32_16x16x32_fp8_fp8 v[224:227], a[210:211], v[150:151], v[224:227]// 000000007484: D3F300E0 0F832DD2
	buffer_load_dwordx4 a[80:83], v42, s[12:15], 0 offen       // 00000000748C: E05C1000 8083502A
	v_mfma_f32_16x16x32_fp8_fp8 v[228:231], a[208:209], v[180:181], v[228:231]// 000000007494: D3F300E4 0F9369D0
	v_mfma_f32_16x16x32_fp8_fp8 v[228:231], a[210:211], v[182:183], v[228:231]// 00000000749C: D3F300E4 0F936DD2
	v_mfma_f32_16x16x32_fp8_fp8 v[232:235], a[212:213], v[148:149], v[232:235]// 0000000074A4: D3F300E8 0FA329D4
	v_mfma_f32_16x16x32_fp8_fp8 v[232:235], a[214:215], v[150:151], v[232:235]// 0000000074AC: D3F300E8 0FA32DD6
	buffer_load_dwordx4 a[84:87], v43, s[12:15], 0 offen       // 0000000074B4: E05C1000 8083542B
	v_mfma_f32_16x16x32_fp8_fp8 v[236:239], a[212:213], v[180:181], v[236:239]// 0000000074BC: D3F300EC 0FB369D4
	v_mfma_f32_16x16x32_fp8_fp8 v[236:239], a[214:215], v[182:183], v[236:239]// 0000000074C4: D3F300EC 0FB36DD6
	v_mfma_f32_16x16x32_fp8_fp8 v[240:243], a[216:217], v[148:149], v[240:243]// 0000000074CC: D3F300F0 0FC329D8
	v_mfma_f32_16x16x32_fp8_fp8 v[240:243], a[218:219], v[150:151], v[240:243]// 0000000074D4: D3F300F0 0FC32DDA
	buffer_load_dwordx4 a[88:91], v44, s[12:15], 0 offen       // 0000000074DC: E05C1000 8083582C
	v_mfma_f32_16x16x32_fp8_fp8 v[244:247], a[216:217], v[180:181], v[244:247]// 0000000074E4: D3F300F4 0FD369D8
	v_mfma_f32_16x16x32_fp8_fp8 v[244:247], a[218:219], v[182:183], v[244:247]// 0000000074EC: D3F300F4 0FD36DDA
	v_mfma_f32_16x16x32_fp8_fp8 v[248:251], a[220:221], v[148:149], v[248:251]// 0000000074F4: D3F300F8 0FE329DC
	v_mfma_f32_16x16x32_fp8_fp8 v[248:251], a[222:223], v[150:151], v[248:251]// 0000000074FC: D3F300F8 0FE32DDE
	buffer_load_dwordx4 a[92:95], v45, s[12:15], 0 offen       // 000000007504: E05C1000 80835C2D
	s_add_u32 s12, s78, s12                                    // 00000000750C: 800C0C4E
	s_addc_u32 s13, 0, s13                                     // 000000007510: 820D0D80
	v_mfma_f32_16x16x32_fp8_fp8 v[252:255], a[220:221], v[180:181], v[252:255]// 000000007514: D3F300FC 0FF369DC
	v_mfma_f32_16x16x32_fp8_fp8 v[252:255], a[222:223], v[182:183], v[252:255]// 00000000751C: D3F300FC 0FF36DDE
	s_waitcnt vmcnt(29)                                        // 000000007524: BF8C4F7D
	v_mfma_f32_16x16x32_fp8_fp8 v[224:227], a[224:225], v[152:153], v[224:227]// 000000007528: D3F300E0 0F8331E0
	v_mfma_f32_16x16x32_fp8_fp8 v[224:227], a[226:227], v[154:155], v[224:227]// 000000007530: D3F300E0 0F8335E2
	buffer_load_dwordx4 a[96:99], v42, s[12:15], 0 offen       // 000000007538: E05C1000 8083602A
	v_mfma_f32_16x16x32_fp8_fp8 v[228:231], a[224:225], v[184:185], v[228:231]// 000000007540: D3F300E4 0F9371E0
	v_mfma_f32_16x16x32_fp8_fp8 v[228:231], a[226:227], v[186:187], v[228:231]// 000000007548: D3F300E4 0F9375E2
	v_mfma_f32_16x16x32_fp8_fp8 v[232:235], a[228:229], v[152:153], v[232:235]// 000000007550: D3F300E8 0FA331E4
	v_mfma_f32_16x16x32_fp8_fp8 v[232:235], a[230:231], v[154:155], v[232:235]// 000000007558: D3F300E8 0FA335E6
	buffer_load_dwordx4 a[100:103], v43, s[12:15], 0 offen     // 000000007560: E05C1000 8083642B
	v_mfma_f32_16x16x32_fp8_fp8 v[236:239], a[228:229], v[184:185], v[236:239]// 000000007568: D3F300EC 0FB371E4
	v_mfma_f32_16x16x32_fp8_fp8 v[236:239], a[230:231], v[186:187], v[236:239]// 000000007570: D3F300EC 0FB375E6
	v_mfma_f32_16x16x32_fp8_fp8 v[240:243], a[232:233], v[152:153], v[240:243]// 000000007578: D3F300F0 0FC331E8
	v_mfma_f32_16x16x32_fp8_fp8 v[240:243], a[234:235], v[154:155], v[240:243]// 000000007580: D3F300F0 0FC335EA
	buffer_load_dwordx4 a[104:107], v44, s[12:15], 0 offen     // 000000007588: E05C1000 8083682C
	v_mfma_f32_16x16x32_fp8_fp8 v[244:247], a[232:233], v[184:185], v[244:247]// 000000007590: D3F300F4 0FD371E8
	v_mfma_f32_16x16x32_fp8_fp8 v[244:247], a[234:235], v[186:187], v[244:247]// 000000007598: D3F300F4 0FD375EA
	v_mfma_f32_16x16x32_fp8_fp8 v[248:251], a[236:237], v[152:153], v[248:251]// 0000000075A0: D3F300F8 0FE331EC
	v_mfma_f32_16x16x32_fp8_fp8 v[248:251], a[238:239], v[154:155], v[248:251]// 0000000075A8: D3F300F8 0FE335EE
	buffer_load_dwordx4 a[108:111], v45, s[12:15], 0 offen     // 0000000075B0: E05C1000 80836C2D
	s_add_u32 s12, s78, s12                                    // 0000000075B8: 800C0C4E
	s_addc_u32 s13, 0, s13                                     // 0000000075BC: 820D0D80
	v_mfma_f32_16x16x32_fp8_fp8 v[252:255], a[236:237], v[184:185], v[252:255]// 0000000075C0: D3F300FC 0FF371EC
	v_mfma_f32_16x16x32_fp8_fp8 v[252:255], a[238:239], v[186:187], v[252:255]// 0000000075C8: D3F300FC 0FF375EE
	s_waitcnt vmcnt(28)                                        // 0000000075D0: BF8C4F7C
	v_mfma_f32_16x16x32_fp8_fp8 v[224:227], a[240:241], v[156:157], v[224:227]// 0000000075D4: D3F300E0 0F8339F0
	v_mfma_f32_16x16x32_fp8_fp8 v[224:227], a[242:243], v[158:159], v[224:227]// 0000000075DC: D3F300E0 0F833DF2
	buffer_load_dwordx4 a[112:115], v42, s[12:15], 0 offen     // 0000000075E4: E05C1000 8083702A
	v_mfma_f32_16x16x32_fp8_fp8 v[228:231], a[240:241], v[188:189], v[228:231]// 0000000075EC: D3F300E4 0F9379F0
	v_mfma_f32_16x16x32_fp8_fp8 v[228:231], a[242:243], v[190:191], v[228:231]// 0000000075F4: D3F300E4 0F937DF2
	buffer_load_dword v12, v5, s[16:19], 0 offen               // 0000000075FC: E0501000 80040C05
	v_mfma_f32_16x16x32_fp8_fp8 v[232:235], a[244:245], v[156:157], v[232:235]// 000000007604: D3F300E8 0FA339F4
	v_mfma_f32_16x16x32_fp8_fp8 v[232:235], a[246:247], v[158:159], v[232:235]// 00000000760C: D3F300E8 0FA33DF6
	buffer_load_dwordx4 a[116:119], v43, s[12:15], 0 offen     // 000000007614: E05C1000 8083742B
	v_mfma_f32_16x16x32_fp8_fp8 v[236:239], a[244:245], v[188:189], v[236:239]// 00000000761C: D3F300EC 0FB379F4
	v_mfma_f32_16x16x32_fp8_fp8 v[236:239], a[246:247], v[190:191], v[236:239]// 000000007624: D3F300EC 0FB37DF6
	v_mfma_f32_16x16x32_fp8_fp8 v[240:243], a[248:249], v[156:157], v[240:243]// 00000000762C: D3F300F0 0FC339F8
	v_mfma_f32_16x16x32_fp8_fp8 v[240:243], a[250:251], v[158:159], v[240:243]// 000000007634: D3F300F0 0FC33DFA
	buffer_load_dwordx4 a[120:123], v44, s[12:15], 0 offen     // 00000000763C: E05C1000 8083782C
	v_mfma_f32_16x16x32_fp8_fp8 v[244:247], a[248:249], v[188:189], v[244:247]// 000000007644: D3F300F4 0FD379F8
	v_mfma_f32_16x16x32_fp8_fp8 v[244:247], a[250:251], v[190:191], v[244:247]// 00000000764C: D3F300F4 0FD37DFA
	v_mfma_f32_16x16x32_fp8_fp8 v[248:251], a[252:253], v[156:157], v[248:251]// 000000007654: D3F300F8 0FE339FC
	v_mfma_f32_16x16x32_fp8_fp8 v[248:251], a[254:255], v[158:159], v[248:251]// 00000000765C: D3F300F8 0FE33DFE
	buffer_load_dwordx4 a[124:127], v45, s[12:15], 0 offen     // 000000007664: E05C1000 80837C2D
	v_mfma_f32_16x16x32_fp8_fp8 v[252:255], a[252:253], v[188:189], v[252:255]// 00000000766C: D3F300FC 0FF379FC
	v_mfma_f32_16x16x32_fp8_fp8 v[252:255], a[254:255], v[190:191], v[252:255]// 000000007674: D3F300FC 0FF37DFE
	s_add_u32 s60, 0x200, s80                                  // 00000000767C: 803C50FF 00000200
	s_cmp_lt_u32 s60, s81                                      // 000000007684: BF0A513C
	s_cselect_b32 s56, s56, 0                                  // 000000007688: 85388038
	s_cselect_b32 s78, s78, 0                                  // 00000000768C: 854E804E
	s_cselect_b32 s79, s79, 0                                  // 000000007690: 854F804F
	s_add_u32 s12, s56, s12                                    // 000000007694: 800C0C38
	s_addc_u32 s13, 0, s13                                     // 000000007698: 820D0D80
	s_add_u32 s16, s79, s16                                    // 00000000769C: 8010104F
	s_addc_u32 s17, 0, s17                                     // 0000000076A0: 82111180
	v_mul_f32_e32 v224, v24, v224                              // 0000000076A4: 0BC1C118
	v_mul_f32_e32 v225, v24, v225                              // 0000000076A8: 0BC3C318
	v_mul_f32_e32 v226, v24, v226                              // 0000000076AC: 0BC5C518
	v_mul_f32_e32 v227, v24, v227                              // 0000000076B0: 0BC7C718
	v_mul_f32_dpp v224, v13, v224 row_newbcast:0 row_mask:0xf bank_mask:0xf// 0000000076B4: 0BC1C0FA FF01500D
	v_mul_f32_dpp v225, v13, v225 row_newbcast:1 row_mask:0xf bank_mask:0xf// 0000000076BC: 0BC3C2FA FF01510D
	v_mul_f32_dpp v226, v13, v226 row_newbcast:2 row_mask:0xf bank_mask:0xf// 0000000076C4: 0BC5C4FA FF01520D
	v_mul_f32_dpp v227, v13, v227 row_newbcast:3 row_mask:0xf bank_mask:0xf// 0000000076CC: 0BC7C6FA FF01530D
	v_mul_f32_e32 v224, v20, v224                              // 0000000076D4: 0BC1C114
	v_mul_f32_e32 v225, v20, v225                              // 0000000076D8: 0BC3C314
	v_mul_f32_e32 v226, v20, v226                              // 0000000076DC: 0BC5C514
	v_mul_f32_e32 v227, v20, v227                              // 0000000076E0: 0BC7C714
	v_mul_f32_e32 v228, v25, v228                              // 0000000076E4: 0BC9C919
	v_mul_f32_e32 v229, v25, v229                              // 0000000076E8: 0BCBCB19
	v_mul_f32_e32 v230, v25, v230                              // 0000000076EC: 0BCDCD19
	v_mul_f32_e32 v231, v25, v231                              // 0000000076F0: 0BCFCF19
	v_mul_f32_dpp v228, v13, v228 row_newbcast:0 row_mask:0xf bank_mask:0xf// 0000000076F4: 0BC9C8FA FF01500D
	v_mul_f32_dpp v229, v13, v229 row_newbcast:1 row_mask:0xf bank_mask:0xf// 0000000076FC: 0BCBCAFA FF01510D
	v_mul_f32_dpp v230, v13, v230 row_newbcast:2 row_mask:0xf bank_mask:0xf// 000000007704: 0BCDCCFA FF01520D
	v_mul_f32_dpp v231, v13, v231 row_newbcast:3 row_mask:0xf bank_mask:0xf// 00000000770C: 0BCFCEFA FF01530D
	v_mul_f32_e32 v228, v21, v228                              // 000000007714: 0BC9C915
	v_mul_f32_e32 v229, v21, v229                              // 000000007718: 0BCBCB15
	v_mul_f32_e32 v230, v21, v230                              // 00000000771C: 0BCDCD15
	v_mul_f32_e32 v231, v21, v231                              // 000000007720: 0BCFCF15
	v_mul_f32_e32 v232, v24, v232                              // 000000007724: 0BD1D118
	v_mul_f32_e32 v233, v24, v233                              // 000000007728: 0BD3D318
	v_mul_f32_e32 v234, v24, v234                              // 00000000772C: 0BD5D518
	v_mul_f32_e32 v235, v24, v235                              // 000000007730: 0BD7D718
	v_mul_f32_dpp v232, v13, v232 row_newbcast:4 row_mask:0xf bank_mask:0xf// 000000007734: 0BD1D0FA FF01540D
	v_mul_f32_dpp v233, v13, v233 row_newbcast:5 row_mask:0xf bank_mask:0xf// 00000000773C: 0BD3D2FA FF01550D
	v_mul_f32_dpp v234, v13, v234 row_newbcast:6 row_mask:0xf bank_mask:0xf// 000000007744: 0BD5D4FA FF01560D
	v_mul_f32_dpp v235, v13, v235 row_newbcast:7 row_mask:0xf bank_mask:0xf// 00000000774C: 0BD7D6FA FF01570D
	v_mul_f32_e32 v232, v20, v232                              // 000000007754: 0BD1D114
	v_mul_f32_e32 v233, v20, v233                              // 000000007758: 0BD3D314
	v_mul_f32_e32 v234, v20, v234                              // 00000000775C: 0BD5D514
	v_mul_f32_e32 v235, v20, v235                              // 000000007760: 0BD7D714
	v_mul_f32_e32 v236, v25, v236                              // 000000007764: 0BD9D919
	v_mul_f32_e32 v237, v25, v237                              // 000000007768: 0BDBDB19
	v_mul_f32_e32 v238, v25, v238                              // 00000000776C: 0BDDDD19
	v_mul_f32_e32 v239, v25, v239                              // 000000007770: 0BDFDF19
	v_mul_f32_dpp v236, v13, v236 row_newbcast:4 row_mask:0xf bank_mask:0xf// 000000007774: 0BD9D8FA FF01540D
	v_mul_f32_dpp v237, v13, v237 row_newbcast:5 row_mask:0xf bank_mask:0xf// 00000000777C: 0BDBDAFA FF01550D
	v_mul_f32_dpp v238, v13, v238 row_newbcast:6 row_mask:0xf bank_mask:0xf// 000000007784: 0BDDDCFA FF01560D
	v_mul_f32_dpp v239, v13, v239 row_newbcast:7 row_mask:0xf bank_mask:0xf// 00000000778C: 0BDFDEFA FF01570D
	v_mul_f32_e32 v236, v21, v236                              // 000000007794: 0BD9D915
	v_mul_f32_e32 v237, v21, v237                              // 000000007798: 0BDBDB15
	v_mul_f32_e32 v238, v21, v238                              // 00000000779C: 0BDDDD15
	v_mul_f32_e32 v239, v21, v239                              // 0000000077A0: 0BDFDF15
	v_mul_f32_e32 v240, v24, v240                              // 0000000077A4: 0BE1E118
	v_mul_f32_e32 v241, v24, v241                              // 0000000077A8: 0BE3E318
	v_mul_f32_e32 v242, v24, v242                              // 0000000077AC: 0BE5E518
	v_mul_f32_e32 v243, v24, v243                              // 0000000077B0: 0BE7E718
	v_mul_f32_dpp v240, v13, v240 row_newbcast:8 row_mask:0xf bank_mask:0xf// 0000000077B4: 0BE1E0FA FF01580D
	v_mul_f32_dpp v241, v13, v241 row_newbcast:9 row_mask:0xf bank_mask:0xf// 0000000077BC: 0BE3E2FA FF01590D
	v_mul_f32_dpp v242, v13, v242 row_newbcast:10 row_mask:0xf bank_mask:0xf// 0000000077C4: 0BE5E4FA FF015A0D
	v_mul_f32_dpp v243, v13, v243 row_newbcast:11 row_mask:0xf bank_mask:0xf// 0000000077CC: 0BE7E6FA FF015B0D
	v_mul_f32_e32 v240, v20, v240                              // 0000000077D4: 0BE1E114
	v_mul_f32_e32 v241, v20, v241                              // 0000000077D8: 0BE3E314
	v_mul_f32_e32 v242, v20, v242                              // 0000000077DC: 0BE5E514
	v_mul_f32_e32 v243, v20, v243                              // 0000000077E0: 0BE7E714
	v_mul_f32_e32 v244, v25, v244                              // 0000000077E4: 0BE9E919
	v_mul_f32_e32 v245, v25, v245                              // 0000000077E8: 0BEBEB19
	v_mul_f32_e32 v246, v25, v246                              // 0000000077EC: 0BEDED19
	v_mul_f32_e32 v247, v25, v247                              // 0000000077F0: 0BEFEF19
	v_mul_f32_dpp v244, v13, v244 row_newbcast:8 row_mask:0xf bank_mask:0xf// 0000000077F4: 0BE9E8FA FF01580D
	v_mul_f32_dpp v245, v13, v245 row_newbcast:9 row_mask:0xf bank_mask:0xf// 0000000077FC: 0BEBEAFA FF01590D
	v_mul_f32_dpp v246, v13, v246 row_newbcast:10 row_mask:0xf bank_mask:0xf// 000000007804: 0BEDECFA FF015A0D
	v_mul_f32_dpp v247, v13, v247 row_newbcast:11 row_mask:0xf bank_mask:0xf// 00000000780C: 0BEFEEFA FF015B0D
	v_mul_f32_e32 v244, v21, v244                              // 000000007814: 0BE9E915
	v_mul_f32_e32 v245, v21, v245                              // 000000007818: 0BEBEB15
	v_mul_f32_e32 v246, v21, v246                              // 00000000781C: 0BEDED15
	v_mul_f32_e32 v247, v21, v247                              // 000000007820: 0BEFEF15
	v_mul_f32_e32 v248, v24, v248                              // 000000007824: 0BF1F118
	v_mul_f32_e32 v249, v24, v249                              // 000000007828: 0BF3F318
	v_mul_f32_e32 v250, v24, v250                              // 00000000782C: 0BF5F518
	v_mul_f32_e32 v251, v24, v251                              // 000000007830: 0BF7F718
	v_mul_f32_dpp v248, v13, v248 row_newbcast:12 row_mask:0xf bank_mask:0xf// 000000007834: 0BF1F0FA FF015C0D
	v_mul_f32_dpp v249, v13, v249 row_newbcast:13 row_mask:0xf bank_mask:0xf// 00000000783C: 0BF3F2FA FF015D0D
	v_mul_f32_dpp v250, v13, v250 row_newbcast:14 row_mask:0xf bank_mask:0xf// 000000007844: 0BF5F4FA FF015E0D
	v_mul_f32_dpp v251, v13, v251 row_newbcast:15 row_mask:0xf bank_mask:0xf// 00000000784C: 0BF7F6FA FF015F0D
	v_mul_f32_e32 v248, v20, v248                              // 000000007854: 0BF1F114
	v_mul_f32_e32 v249, v20, v249                              // 000000007858: 0BF3F314
	v_mul_f32_e32 v250, v20, v250                              // 00000000785C: 0BF5F514
	v_mul_f32_e32 v251, v20, v251                              // 000000007860: 0BF7F714
	v_mul_f32_e32 v252, v25, v252                              // 000000007864: 0BF9F919
	v_mul_f32_e32 v253, v25, v253                              // 000000007868: 0BFBFB19
	v_mul_f32_e32 v254, v25, v254                              // 00000000786C: 0BFDFD19
	v_mul_f32_e32 v255, v25, v255                              // 000000007870: 0BFFFF19
	v_mul_f32_dpp v252, v13, v252 row_newbcast:12 row_mask:0xf bank_mask:0xf// 000000007874: 0BF9F8FA FF015C0D
	v_mul_f32_dpp v253, v13, v253 row_newbcast:13 row_mask:0xf bank_mask:0xf// 00000000787C: 0BFBFAFA FF015D0D
	v_mul_f32_dpp v254, v13, v254 row_newbcast:14 row_mask:0xf bank_mask:0xf// 000000007884: 0BFDFCFA FF015E0D
	v_mul_f32_dpp v255, v13, v255 row_newbcast:15 row_mask:0xf bank_mask:0xf// 00000000788C: 0BFFFEFA FF015F0D
	v_mul_f32_e32 v252, v21, v252                              // 000000007894: 0BF9F915
	v_mul_f32_e32 v253, v21, v253                              // 000000007898: 0BFBFB15
	v_mul_f32_e32 v254, v21, v254                              // 00000000789C: 0BFDFD15
	v_mul_f32_e32 v255, v21, v255                              // 0000000078A0: 0BFFFF15
	v_cvt_pkrtz_f16_f32 v224, v224, v225                       // 0000000078A4: D29600E0 0003C3E0
	v_cvt_pkrtz_f16_f32 v225, v226, v227                       // 0000000078AC: D29600E1 0003C7E2
	v_cvt_pkrtz_f16_f32 v226, v228, v229                       // 0000000078B4: D29600E2 0003CBE4
	v_cvt_pkrtz_f16_f32 v227, v230, v231                       // 0000000078BC: D29600E3 0003CFE6
	v_cvt_pkrtz_f16_f32 v228, v232, v233                       // 0000000078C4: D29600E4 0003D3E8
	v_cvt_pkrtz_f16_f32 v229, v234, v235                       // 0000000078CC: D29600E5 0003D7EA
	v_cvt_pkrtz_f16_f32 v230, v236, v237                       // 0000000078D4: D29600E6 0003DBEC
	v_cvt_pkrtz_f16_f32 v231, v238, v239                       // 0000000078DC: D29600E7 0003DFEE
	v_cvt_pkrtz_f16_f32 v232, v240, v241                       // 0000000078E4: D29600E8 0003E3F0
	v_cvt_pkrtz_f16_f32 v233, v242, v243                       // 0000000078EC: D29600E9 0003E7F2
	v_cvt_pkrtz_f16_f32 v234, v244, v245                       // 0000000078F4: D29600EA 0003EBF4
	v_cvt_pkrtz_f16_f32 v235, v246, v247                       // 0000000078FC: D29600EB 0003EFF6
	v_cvt_pkrtz_f16_f32 v236, v248, v249                       // 000000007904: D29600EC 0003F3F8
	v_cvt_pkrtz_f16_f32 v237, v250, v251                       // 00000000790C: D29600ED 0003F7FA
	v_cvt_pkrtz_f16_f32 v238, v252, v253                       // 000000007914: D29600EE 0003FBFC
	v_cvt_pkrtz_f16_f32 v239, v254, v255                       // 00000000791C: D29600EF 0003FFFE
	s_cmp_ge_u32 s80, 0x200                                    // 000000007924: BF09FF50 00000200
	s_cselect_b32 s59, 0x200, s59                              // 00000000792C: 853B3BFF 00000200
	s_setvskip s20, 0                                          // 000000007934: BF108014
	global_atomic_pk_add_f16 v80, v64, s[8:9]                  // 000000007938: DD388000 00084050
	s_setvskip 0, 0                                            // 000000007940: BF108080
	s_setvskip s20, 0                                          // 000000007944: BF108014
	global_atomic_pk_add_f16 v80, v65, s[8:9] offset:256       // 000000007948: DD388100 00084150
	s_setvskip 0, 0                                            // 000000007950: BF108080
	s_setvskip s20, 1                                          // 000000007954: BF108114
	global_atomic_pk_add_f16 v82, v66, s[8:9]                  // 000000007958: DD388000 00084252
	s_setvskip 0, 0                                            // 000000007960: BF108080
	s_setvskip s20, 1                                          // 000000007964: BF108114
	global_atomic_pk_add_f16 v82, v67, s[8:9] offset:256       // 000000007968: DD388100 00084352
	s_setvskip 0, 0                                            // 000000007970: BF108080
	s_setvskip s20, 2                                          // 000000007974: BF108214
	global_atomic_pk_add_f16 v84, v68, s[8:9]                  // 000000007978: DD388000 00084454
	s_setvskip 0, 0                                            // 000000007980: BF108080
	s_setvskip s20, 2                                          // 000000007984: BF108214
	global_atomic_pk_add_f16 v84, v69, s[8:9] offset:256       // 000000007988: DD388100 00084554
	s_setvskip 0, 0                                            // 000000007990: BF108080
	s_setvskip s20, 3                                          // 000000007994: BF108314
	global_atomic_pk_add_f16 v86, v70, s[8:9]                  // 000000007998: DD388000 00084656
	s_setvskip 0, 0                                            // 0000000079A0: BF108080
	s_setvskip s20, 3                                          // 0000000079A4: BF108314
	global_atomic_pk_add_f16 v86, v71, s[8:9] offset:256       // 0000000079A8: DD388100 00084756
	s_setvskip 0, 0                                            // 0000000079B0: BF108080
	s_setvskip s20, 4                                          // 0000000079B4: BF108414
	global_atomic_pk_add_f16 v88, v72, s[8:9]                  // 0000000079B8: DD388000 00084858
	s_setvskip 0, 0                                            // 0000000079C0: BF108080
	s_setvskip s20, 4                                          // 0000000079C4: BF108414
	global_atomic_pk_add_f16 v88, v73, s[8:9] offset:256       // 0000000079C8: DD388100 00084958
	s_setvskip 0, 0                                            // 0000000079D0: BF108080
	s_setvskip s20, 5                                          // 0000000079D4: BF108514
	global_atomic_pk_add_f16 v90, v74, s[8:9]                  // 0000000079D8: DD388000 00084A5A
	s_setvskip 0, 0                                            // 0000000079E0: BF108080
	s_setvskip s20, 5                                          // 0000000079E4: BF108514
	global_atomic_pk_add_f16 v90, v75, s[8:9] offset:256       // 0000000079E8: DD388100 00084B5A
	s_setvskip 0, 0                                            // 0000000079F0: BF108080
	s_setvskip s20, 6                                          // 0000000079F4: BF108614
	global_atomic_pk_add_f16 v92, v76, s[8:9]                  // 0000000079F8: DD388000 00084C5C
	s_setvskip 0, 0                                            // 000000007A00: BF108080
	s_setvskip s20, 6                                          // 000000007A04: BF108614
	global_atomic_pk_add_f16 v92, v77, s[8:9] offset:256       // 000000007A08: DD388100 00084D5C
	s_setvskip 0, 0                                            // 000000007A10: BF108080
	s_setvskip s20, 7                                          // 000000007A14: BF108714
	global_atomic_pk_add_f16 v94, v78, s[8:9]                  // 000000007A18: DD388000 00084E5E
	s_setvskip 0, 0                                            // 000000007A20: BF108080
	s_setvskip s20, 7                                          // 000000007A24: BF108714
	global_atomic_pk_add_f16 v94, v79, s[8:9] offset:256       // 000000007A28: DD388100 00084F5E
	s_setvskip 0, 0                                            // 000000007A30: BF108080
	s_add_u32 s8, s59, s8                                      // 000000007A34: 8008083B
	s_addc_u32 s9, 0, s9                                       // 000000007A38: 82090980
	s_addk_i32 s80, 0x100                                      // 000000007A3C: B7500100
	s_cmp_lt_i32 s80, s81                                      // 000000007A40: BF045150
	s_cbranch_scc0 label_1313                                  // 000000007A44: BF840001
	s_branch label_0E1A                                        // 000000007A48: BF82FB07

0000000000007a4c <label_1313>:
	s_nop 0                                                    // 000000007A4C: BF800000
	s_nop 0                                                    // 000000007A50: BF800000
	s_branch label_2386                                        // 000000007A54: BF821070

0000000000007a58 <label_1316>:
	s_waitcnt vmcnt(24) lgkmcnt(0)                             // 000000007A58: BF8C4078
	s_barrier                                                  // 000000007A5C: BF8A0000
	v_mfma_f32_16x16x32_fp8_fp8 v[128:131], a[0:1], v[192:193], v[128:131]// 000000007A60: D3F30080 0E038100
	buffer_load_dwordx4 a[128:131], v34, s[92:95], 0 offen     // 000000007A68: E05C1000 80978022
	v_mfma_f32_16x16x32_fp8_fp8 v[128:131], a[2:3], v[194:195], v[128:131]// 000000007A70: D3F30080 0E038502
	v_mfma_f32_16x16x32_fp8_fp8 v[128:131], a[4:5], v[196:197], v[128:131]// 000000007A78: D3F30080 0E038904
	buffer_load_dword v26, s[20:23], 0 offen lds               // 000000007A80: E0511000 8005001A
	s_add_u32 m0, 0x100, s51                                   // 000000007A88: 807C33FF 00000100
	v_mfma_f32_16x16x32_fp8_fp8 v[128:131], a[6:7], v[198:199], v[128:131]// 000000007A90: D3F30080 0E038D06
	v_mfma_f32_16x16x32_fp8_fp8 v[128:131], a[8:9], v[200:201], v[128:131]// 000000007A98: D3F30080 0E039108
	buffer_load_dwordx4 a[132:135], v34, s[92:95], 0 offen offset:1024// 000000007AA0: E05C1400 80978422
	v_mfma_f32_16x16x32_fp8_fp8 v[128:131], a[10:11], v[202:203], v[128:131]// 000000007AA8: D3F30080 0E03950A
	v_mfma_f32_16x16x32_fp8_fp8 v[128:131], a[12:13], v[204:205], v[128:131]// 000000007AB0: D3F30080 0E03990C
	buffer_load_dword v27, s[20:23], 0 offen lds               // 000000007AB8: E0511000 8005001B
	s_add_u32 m0, 0x200, s51                                   // 000000007AC0: 807C33FF 00000200
	v_mfma_f32_16x16x32_fp8_fp8 v[128:131], a[14:15], v[206:207], v[128:131]// 000000007AC8: D3F30080 0E039D0E
	v_mfma_f32_16x16x32_fp8_fp8 v[132:135], a[0:1], v[208:209], v[132:135]// 000000007AD0: D3F30084 0E13A100
	buffer_load_dwordx4 a[136:139], v34, s[92:95], 0 offen offset:2048// 000000007AD8: E05C1800 80978822
	v_mfma_f32_16x16x32_fp8_fp8 v[132:135], a[2:3], v[210:211], v[132:135]// 000000007AE0: D3F30084 0E13A502
	v_mfma_f32_16x16x32_fp8_fp8 v[132:135], a[4:5], v[212:213], v[132:135]// 000000007AE8: D3F30084 0E13A904
	buffer_load_dword v28, s[20:23], 0 offen lds               // 000000007AF0: E0511000 8005001C
	s_add_u32 m0, 0x300, s51                                   // 000000007AF8: 807C33FF 00000300
	v_mfma_f32_16x16x32_fp8_fp8 v[132:135], a[6:7], v[214:215], v[132:135]// 000000007B00: D3F30084 0E13AD06
	v_mfma_f32_16x16x32_fp8_fp8 v[132:135], a[8:9], v[216:217], v[132:135]// 000000007B08: D3F30084 0E13B108
	buffer_load_dwordx4 a[140:143], v34, s[92:95], 0 offen offset:3072// 000000007B10: E05C1C00 80978C22
	v_mfma_f32_16x16x32_fp8_fp8 v[132:135], a[10:11], v[218:219], v[132:135]// 000000007B18: D3F30084 0E13B50A
	v_mfma_f32_16x16x32_fp8_fp8 v[132:135], a[12:13], v[220:221], v[132:135]// 000000007B20: D3F30084 0E13B90C
	buffer_load_dword v29, s[20:23], 0 offen lds               // 000000007B28: E0511000 8005001D
	s_add_u32 m0, 0x400, s51                                   // 000000007B30: 807C33FF 00000400
	v_mfma_f32_16x16x32_fp8_fp8 v[132:135], a[14:15], v[222:223], v[132:135]// 000000007B38: D3F30084 0E13BD0E
	v_mfma_f32_16x16x32_fp8_fp8 v[136:139], a[16:17], v[192:193], v[136:139]// 000000007B40: D3F30088 0E238110
	buffer_load_dwordx4 a[144:147], v35, s[92:95], 0 offen     // 000000007B48: E05C1000 80979023
	v_mfma_f32_16x16x32_fp8_fp8 v[136:139], a[18:19], v[194:195], v[136:139]// 000000007B50: D3F30088 0E238512
	v_mfma_f32_16x16x32_fp8_fp8 v[136:139], a[20:21], v[196:197], v[136:139]// 000000007B58: D3F30088 0E238914
	buffer_load_dword v30, s[20:23], 0 offen lds               // 000000007B60: E0511000 8005001E
	s_add_u32 m0, 0x500, s51                                   // 000000007B68: 807C33FF 00000500
	v_mfma_f32_16x16x32_fp8_fp8 v[136:139], a[22:23], v[198:199], v[136:139]// 000000007B70: D3F30088 0E238D16
	v_mfma_f32_16x16x32_fp8_fp8 v[136:139], a[24:25], v[200:201], v[136:139]// 000000007B78: D3F30088 0E239118
	buffer_load_dwordx4 a[148:151], v35, s[92:95], 0 offen offset:1024// 000000007B80: E05C1400 80979423
	v_mfma_f32_16x16x32_fp8_fp8 v[136:139], a[26:27], v[202:203], v[136:139]// 000000007B88: D3F30088 0E23951A
	v_mfma_f32_16x16x32_fp8_fp8 v[136:139], a[28:29], v[204:205], v[136:139]// 000000007B90: D3F30088 0E23991C
	buffer_load_dword v31, s[20:23], 0 offen lds               // 000000007B98: E0511000 8005001F
	s_add_u32 m0, 0x600, s51                                   // 000000007BA0: 807C33FF 00000600
	v_mfma_f32_16x16x32_fp8_fp8 v[136:139], a[30:31], v[206:207], v[136:139]// 000000007BA8: D3F30088 0E239D1E
	v_mfma_f32_16x16x32_fp8_fp8 v[140:143], a[16:17], v[208:209], v[140:143]// 000000007BB0: D3F3008C 0E33A110
	buffer_load_dwordx4 a[152:155], v35, s[92:95], 0 offen offset:2048// 000000007BB8: E05C1800 80979823
	v_mfma_f32_16x16x32_fp8_fp8 v[140:143], a[18:19], v[210:211], v[140:143]// 000000007BC0: D3F3008C 0E33A512
	v_mfma_f32_16x16x32_fp8_fp8 v[140:143], a[20:21], v[212:213], v[140:143]// 000000007BC8: D3F3008C 0E33A914
	buffer_load_dword v32, s[20:23], 0 offen lds               // 000000007BD0: E0511000 80050020
	s_add_u32 m0, 0x700, s51                                   // 000000007BD8: 807C33FF 00000700
	v_mfma_f32_16x16x32_fp8_fp8 v[140:143], a[22:23], v[214:215], v[140:143]// 000000007BE0: D3F3008C 0E33AD16
	v_mfma_f32_16x16x32_fp8_fp8 v[140:143], a[24:25], v[216:217], v[140:143]// 000000007BE8: D3F3008C 0E33B118
	buffer_load_dwordx4 a[156:159], v35, s[92:95], 0 offen offset:3072// 000000007BF0: E05C1C00 80979C23
	v_mfma_f32_16x16x32_fp8_fp8 v[140:143], a[26:27], v[218:219], v[140:143]// 000000007BF8: D3F3008C 0E33B51A
	v_mfma_f32_16x16x32_fp8_fp8 v[140:143], a[28:29], v[220:221], v[140:143]// 000000007C00: D3F3008C 0E33B91C
	buffer_load_dword v33, s[20:23], 0 offen lds               // 000000007C08: E0511000 80050021
	s_add_u32 m0, 0, s50                                       // 000000007C10: 807C3280
	v_mfma_f32_16x16x32_fp8_fp8 v[140:143], a[30:31], v[222:223], v[140:143]// 000000007C14: D3F3008C 0E33BD1E
	s_waitcnt vmcnt(36)                                        // 000000007C1C: BF8C8F74
	v_mfma_f32_16x16x32_fp8_fp8 v[144:147], a[32:33], v[192:193], v[144:147]// 000000007C20: D3F30090 0E438120
	buffer_load_dwordx4 a[160:163], v36, s[92:95], 0 offen     // 000000007C28: E05C1000 8097A024
	v_mfma_f32_16x16x32_fp8_fp8 v[144:147], a[34:35], v[194:195], v[144:147]// 000000007C30: D3F30090 0E438522
	v_mfma_f32_16x16x32_fp8_fp8 v[144:147], a[36:37], v[196:197], v[144:147]// 000000007C38: D3F30090 0E438924
	v_mfma_f32_16x16x32_fp8_fp8 v[144:147], a[38:39], v[198:199], v[144:147]// 000000007C40: D3F30090 0E438D26
	v_mfma_f32_16x16x32_fp8_fp8 v[144:147], a[40:41], v[200:201], v[144:147]// 000000007C48: D3F30090 0E439128
	buffer_load_dwordx4 a[164:167], v36, s[92:95], 0 offen offset:1024// 000000007C50: E05C1400 8097A424
	v_mfma_f32_16x16x32_fp8_fp8 v[144:147], a[42:43], v[202:203], v[144:147]// 000000007C58: D3F30090 0E43952A
	v_mfma_f32_16x16x32_fp8_fp8 v[144:147], a[44:45], v[204:205], v[144:147]// 000000007C60: D3F30090 0E43992C
	v_mfma_f32_16x16x32_fp8_fp8 v[144:147], a[46:47], v[206:207], v[144:147]// 000000007C68: D3F30090 0E439D2E
	v_mfma_f32_16x16x32_fp8_fp8 v[148:151], a[32:33], v[208:209], v[148:151]// 000000007C70: D3F30094 0E53A120
	buffer_load_dwordx4 a[168:171], v36, s[92:95], 0 offen offset:2048// 000000007C78: E05C1800 8097A824
	v_mfma_f32_16x16x32_fp8_fp8 v[148:151], a[34:35], v[210:211], v[148:151]// 000000007C80: D3F30094 0E53A522
	v_mfma_f32_16x16x32_fp8_fp8 v[148:151], a[36:37], v[212:213], v[148:151]// 000000007C88: D3F30094 0E53A924
	v_mfma_f32_16x16x32_fp8_fp8 v[148:151], a[38:39], v[214:215], v[148:151]// 000000007C90: D3F30094 0E53AD26
	v_mfma_f32_16x16x32_fp8_fp8 v[148:151], a[40:41], v[216:217], v[148:151]// 000000007C98: D3F30094 0E53B128
	buffer_load_dwordx4 a[172:175], v36, s[92:95], 0 offen offset:3072// 000000007CA0: E05C1C00 8097AC24
	v_mfma_f32_16x16x32_fp8_fp8 v[148:151], a[42:43], v[218:219], v[148:151]// 000000007CA8: D3F30094 0E53B52A
	v_mfma_f32_16x16x32_fp8_fp8 v[148:151], a[44:45], v[220:221], v[148:151]// 000000007CB0: D3F30094 0E53B92C
	v_mfma_f32_16x16x32_fp8_fp8 v[148:151], a[46:47], v[222:223], v[148:151]// 000000007CB8: D3F30094 0E53BD2E
	s_waitcnt vmcnt(36)                                        // 000000007CC0: BF8C8F74
	v_mfma_f32_16x16x32_fp8_fp8 v[152:155], a[48:49], v[192:193], v[152:155]// 000000007CC4: D3F30098 0E638130
	buffer_load_dwordx4 a[176:179], v37, s[92:95], 0 offen     // 000000007CCC: E05C1000 8097B025
	v_mfma_f32_16x16x32_fp8_fp8 v[152:155], a[50:51], v[194:195], v[152:155]// 000000007CD4: D3F30098 0E638532
	v_mfma_f32_16x16x32_fp8_fp8 v[152:155], a[52:53], v[196:197], v[152:155]// 000000007CDC: D3F30098 0E638934
	v_mfma_f32_16x16x32_fp8_fp8 v[152:155], a[54:55], v[198:199], v[152:155]// 000000007CE4: D3F30098 0E638D36
	v_mfma_f32_16x16x32_fp8_fp8 v[152:155], a[56:57], v[200:201], v[152:155]// 000000007CEC: D3F30098 0E639138
	buffer_load_dwordx4 a[180:183], v37, s[92:95], 0 offen offset:1024// 000000007CF4: E05C1400 8097B425
	v_mfma_f32_16x16x32_fp8_fp8 v[152:155], a[58:59], v[202:203], v[152:155]// 000000007CFC: D3F30098 0E63953A
	v_mfma_f32_16x16x32_fp8_fp8 v[152:155], a[60:61], v[204:205], v[152:155]// 000000007D04: D3F30098 0E63993C
	v_mfma_f32_16x16x32_fp8_fp8 v[152:155], a[62:63], v[206:207], v[152:155]// 000000007D0C: D3F30098 0E639D3E
	v_mfma_f32_16x16x32_fp8_fp8 v[156:159], a[48:49], v[208:209], v[156:159]// 000000007D14: D3F3009C 0E73A130
	buffer_load_dwordx4 a[184:187], v37, s[92:95], 0 offen offset:2048// 000000007D1C: E05C1800 8097B825
	v_mfma_f32_16x16x32_fp8_fp8 v[156:159], a[50:51], v[210:211], v[156:159]// 000000007D24: D3F3009C 0E73A532
	v_mfma_f32_16x16x32_fp8_fp8 v[156:159], a[52:53], v[212:213], v[156:159]// 000000007D2C: D3F3009C 0E73A934
	v_mfma_f32_16x16x32_fp8_fp8 v[156:159], a[54:55], v[214:215], v[156:159]// 000000007D34: D3F3009C 0E73AD36
	v_mfma_f32_16x16x32_fp8_fp8 v[156:159], a[56:57], v[216:217], v[156:159]// 000000007D3C: D3F3009C 0E73B138
	buffer_load_dwordx4 a[188:191], v37, s[92:95], 0 offen offset:3072// 000000007D44: E05C1C00 8097BC25
	v_mfma_f32_16x16x32_fp8_fp8 v[156:159], a[58:59], v[218:219], v[156:159]// 000000007D4C: D3F3009C 0E73B53A
	v_mfma_f32_16x16x32_fp8_fp8 v[156:159], a[60:61], v[220:221], v[156:159]// 000000007D54: D3F3009C 0E73B93C
	v_mfma_f32_16x16x32_fp8_fp8 v[156:159], a[62:63], v[222:223], v[156:159]// 000000007D5C: D3F3009C 0E73BD3E
	s_waitcnt vmcnt(36)                                        // 000000007D64: BF8C8F74
	v_mfma_f32_16x16x32_fp8_fp8 v[160:163], a[64:65], v[192:193], v[160:163]// 000000007D68: D3F300A0 0E838140
	buffer_load_dwordx4 a[192:195], v38, s[92:95], 0 offen     // 000000007D70: E05C1000 8097C026
	v_mfma_f32_16x16x32_fp8_fp8 v[160:163], a[66:67], v[194:195], v[160:163]// 000000007D78: D3F300A0 0E838542
	v_mfma_f32_16x16x32_fp8_fp8 v[160:163], a[68:69], v[196:197], v[160:163]// 000000007D80: D3F300A0 0E838944
	v_mfma_f32_16x16x32_fp8_fp8 v[160:163], a[70:71], v[198:199], v[160:163]// 000000007D88: D3F300A0 0E838D46
	v_mfma_f32_16x16x32_fp8_fp8 v[160:163], a[72:73], v[200:201], v[160:163]// 000000007D90: D3F300A0 0E839148
	buffer_load_dwordx4 a[196:199], v38, s[92:95], 0 offen offset:1024// 000000007D98: E05C1400 8097C426
	v_mfma_f32_16x16x32_fp8_fp8 v[160:163], a[74:75], v[202:203], v[160:163]// 000000007DA0: D3F300A0 0E83954A
	v_mfma_f32_16x16x32_fp8_fp8 v[160:163], a[76:77], v[204:205], v[160:163]// 000000007DA8: D3F300A0 0E83994C
	v_mfma_f32_16x16x32_fp8_fp8 v[160:163], a[78:79], v[206:207], v[160:163]// 000000007DB0: D3F300A0 0E839D4E
	v_mfma_f32_16x16x32_fp8_fp8 v[164:167], a[64:65], v[208:209], v[164:167]// 000000007DB8: D3F300A4 0E93A140
	buffer_load_dwordx4 a[200:203], v38, s[92:95], 0 offen offset:2048// 000000007DC0: E05C1800 8097C826
	v_mfma_f32_16x16x32_fp8_fp8 v[164:167], a[66:67], v[210:211], v[164:167]// 000000007DC8: D3F300A4 0E93A542
	v_mfma_f32_16x16x32_fp8_fp8 v[164:167], a[68:69], v[212:213], v[164:167]// 000000007DD0: D3F300A4 0E93A944
	v_mfma_f32_16x16x32_fp8_fp8 v[164:167], a[70:71], v[214:215], v[164:167]// 000000007DD8: D3F300A4 0E93AD46
	v_mfma_f32_16x16x32_fp8_fp8 v[164:167], a[72:73], v[216:217], v[164:167]// 000000007DE0: D3F300A4 0E93B148
	buffer_load_dwordx4 a[204:207], v38, s[92:95], 0 offen offset:3072// 000000007DE8: E05C1C00 8097CC26
	v_mfma_f32_16x16x32_fp8_fp8 v[164:167], a[74:75], v[218:219], v[164:167]// 000000007DF0: D3F300A4 0E93B54A
	v_mfma_f32_16x16x32_fp8_fp8 v[164:167], a[76:77], v[220:221], v[164:167]// 000000007DF8: D3F300A4 0E93B94C
	v_mfma_f32_16x16x32_fp8_fp8 v[164:167], a[78:79], v[222:223], v[164:167]// 000000007E00: D3F300A4 0E93BD4E
	s_waitcnt vmcnt(36)                                        // 000000007E08: BF8C8F74
	v_mfma_f32_16x16x32_fp8_fp8 v[168:171], a[80:81], v[192:193], v[168:171]// 000000007E0C: D3F300A8 0EA38150
	buffer_load_dwordx4 a[208:211], v39, s[92:95], 0 offen     // 000000007E14: E05C1000 8097D027
	v_mfma_f32_16x16x32_fp8_fp8 v[168:171], a[82:83], v[194:195], v[168:171]// 000000007E1C: D3F300A8 0EA38552
	v_mfma_f32_16x16x32_fp8_fp8 v[168:171], a[84:85], v[196:197], v[168:171]// 000000007E24: D3F300A8 0EA38954
	v_mfma_f32_16x16x32_fp8_fp8 v[168:171], a[86:87], v[198:199], v[168:171]// 000000007E2C: D3F300A8 0EA38D56
	v_mfma_f32_16x16x32_fp8_fp8 v[168:171], a[88:89], v[200:201], v[168:171]// 000000007E34: D3F300A8 0EA39158
	buffer_load_dwordx4 a[212:215], v39, s[92:95], 0 offen offset:1024// 000000007E3C: E05C1400 8097D427
	v_mfma_f32_16x16x32_fp8_fp8 v[168:171], a[90:91], v[202:203], v[168:171]// 000000007E44: D3F300A8 0EA3955A
	v_mfma_f32_16x16x32_fp8_fp8 v[168:171], a[92:93], v[204:205], v[168:171]// 000000007E4C: D3F300A8 0EA3995C
	v_mfma_f32_16x16x32_fp8_fp8 v[168:171], a[94:95], v[206:207], v[168:171]// 000000007E54: D3F300A8 0EA39D5E
	v_mfma_f32_16x16x32_fp8_fp8 v[172:175], a[80:81], v[208:209], v[172:175]// 000000007E5C: D3F300AC 0EB3A150
	buffer_load_dwordx4 a[216:219], v39, s[92:95], 0 offen offset:2048// 000000007E64: E05C1800 8097D827
	v_mfma_f32_16x16x32_fp8_fp8 v[172:175], a[82:83], v[210:211], v[172:175]// 000000007E6C: D3F300AC 0EB3A552
	v_mfma_f32_16x16x32_fp8_fp8 v[172:175], a[84:85], v[212:213], v[172:175]// 000000007E74: D3F300AC 0EB3A954
	v_mfma_f32_16x16x32_fp8_fp8 v[172:175], a[86:87], v[214:215], v[172:175]// 000000007E7C: D3F300AC 0EB3AD56
	v_mfma_f32_16x16x32_fp8_fp8 v[172:175], a[88:89], v[216:217], v[172:175]// 000000007E84: D3F300AC 0EB3B158
	buffer_load_dwordx4 a[220:223], v39, s[92:95], 0 offen offset:3072// 000000007E8C: E05C1C00 8097DC27
	v_mfma_f32_16x16x32_fp8_fp8 v[172:175], a[90:91], v[218:219], v[172:175]// 000000007E94: D3F300AC 0EB3B55A
	v_mfma_f32_16x16x32_fp8_fp8 v[172:175], a[92:93], v[220:221], v[172:175]// 000000007E9C: D3F300AC 0EB3B95C
	v_mfma_f32_16x16x32_fp8_fp8 v[172:175], a[94:95], v[222:223], v[172:175]// 000000007EA4: D3F300AC 0EB3BD5E
	s_waitcnt vmcnt(36)                                        // 000000007EAC: BF8C8F74
	v_mfma_f32_16x16x32_fp8_fp8 v[176:179], a[96:97], v[192:193], v[176:179]// 000000007EB0: D3F300B0 0EC38160
	buffer_load_dwordx4 a[224:227], v40, s[92:95], 0 offen     // 000000007EB8: E05C1000 8097E028
	v_mfma_f32_16x16x32_fp8_fp8 v[176:179], a[98:99], v[194:195], v[176:179]// 000000007EC0: D3F300B0 0EC38562
	v_mfma_f32_16x16x32_fp8_fp8 v[176:179], a[100:101], v[196:197], v[176:179]// 000000007EC8: D3F300B0 0EC38964
	v_mfma_f32_16x16x32_fp8_fp8 v[176:179], a[102:103], v[198:199], v[176:179]// 000000007ED0: D3F300B0 0EC38D66
	v_mfma_f32_16x16x32_fp8_fp8 v[176:179], a[104:105], v[200:201], v[176:179]// 000000007ED8: D3F300B0 0EC39168
	buffer_load_dwordx4 a[228:231], v40, s[92:95], 0 offen offset:1024// 000000007EE0: E05C1400 8097E428
	v_mfma_f32_16x16x32_fp8_fp8 v[176:179], a[106:107], v[202:203], v[176:179]// 000000007EE8: D3F300B0 0EC3956A
	v_mfma_f32_16x16x32_fp8_fp8 v[176:179], a[108:109], v[204:205], v[176:179]// 000000007EF0: D3F300B0 0EC3996C
	v_mfma_f32_16x16x32_fp8_fp8 v[176:179], a[110:111], v[206:207], v[176:179]// 000000007EF8: D3F300B0 0EC39D6E
	v_mfma_f32_16x16x32_fp8_fp8 v[180:183], a[96:97], v[208:209], v[180:183]// 000000007F00: D3F300B4 0ED3A160
	buffer_load_dwordx4 a[232:235], v40, s[92:95], 0 offen offset:2048// 000000007F08: E05C1800 8097E828
	v_mfma_f32_16x16x32_fp8_fp8 v[180:183], a[98:99], v[210:211], v[180:183]// 000000007F10: D3F300B4 0ED3A562
	v_mfma_f32_16x16x32_fp8_fp8 v[180:183], a[100:101], v[212:213], v[180:183]// 000000007F18: D3F300B4 0ED3A964
	v_mfma_f32_16x16x32_fp8_fp8 v[180:183], a[102:103], v[214:215], v[180:183]// 000000007F20: D3F300B4 0ED3AD66
	v_mfma_f32_16x16x32_fp8_fp8 v[180:183], a[104:105], v[216:217], v[180:183]// 000000007F28: D3F300B4 0ED3B168
	buffer_load_dwordx4 a[236:239], v40, s[92:95], 0 offen offset:3072// 000000007F30: E05C1C00 8097EC28
	v_mfma_f32_16x16x32_fp8_fp8 v[180:183], a[106:107], v[218:219], v[180:183]// 000000007F38: D3F300B4 0ED3B56A
	v_mfma_f32_16x16x32_fp8_fp8 v[180:183], a[108:109], v[220:221], v[180:183]// 000000007F40: D3F300B4 0ED3B96C
	v_mfma_f32_16x16x32_fp8_fp8 v[180:183], a[110:111], v[222:223], v[180:183]// 000000007F48: D3F300B4 0ED3BD6E
	s_waitcnt vmcnt(36)                                        // 000000007F50: BF8C8F74
	v_mfma_f32_16x16x32_fp8_fp8 v[184:187], a[112:113], v[192:193], v[184:187]// 000000007F54: D3F300B8 0EE38170
	buffer_load_dwordx4 a[240:243], v41, s[92:95], 0 offen     // 000000007F5C: E05C1000 8097F029
	v_mfma_f32_16x16x32_fp8_fp8 v[184:187], a[114:115], v[194:195], v[184:187]// 000000007F64: D3F300B8 0EE38572
	v_mfma_f32_16x16x32_fp8_fp8 v[184:187], a[116:117], v[196:197], v[184:187]// 000000007F6C: D3F300B8 0EE38974
	v_mfma_f32_16x16x32_fp8_fp8 v[184:187], a[118:119], v[198:199], v[184:187]// 000000007F74: D3F300B8 0EE38D76
	v_mfma_f32_16x16x32_fp8_fp8 v[184:187], a[120:121], v[200:201], v[184:187]// 000000007F7C: D3F300B8 0EE39178
	buffer_load_dwordx4 a[244:247], v41, s[92:95], 0 offen offset:1024// 000000007F84: E05C1400 8097F429
	v_mfma_f32_16x16x32_fp8_fp8 v[184:187], a[122:123], v[202:203], v[184:187]// 000000007F8C: D3F300B8 0EE3957A
	v_mfma_f32_16x16x32_fp8_fp8 v[184:187], a[124:125], v[204:205], v[184:187]// 000000007F94: D3F300B8 0EE3997C
	v_mfma_f32_16x16x32_fp8_fp8 v[184:187], a[126:127], v[206:207], v[184:187]// 000000007F9C: D3F300B8 0EE39D7E
	v_mfma_f32_16x16x32_fp8_fp8 v[188:191], a[112:113], v[208:209], v[188:191]// 000000007FA4: D3F300BC 0EF3A170
	buffer_load_dwordx4 a[248:251], v41, s[92:95], 0 offen offset:2048// 000000007FAC: E05C1800 8097F829
	v_mfma_f32_16x16x32_fp8_fp8 v[188:191], a[114:115], v[210:211], v[188:191]// 000000007FB4: D3F300BC 0EF3A572
	v_mfma_f32_16x16x32_fp8_fp8 v[188:191], a[116:117], v[212:213], v[188:191]// 000000007FBC: D3F300BC 0EF3A974
	v_mfma_f32_16x16x32_fp8_fp8 v[188:191], a[118:119], v[214:215], v[188:191]// 000000007FC4: D3F300BC 0EF3AD76
	v_mfma_f32_16x16x32_fp8_fp8 v[188:191], a[120:121], v[216:217], v[188:191]// 000000007FCC: D3F300BC 0EF3B178
	buffer_load_dwordx4 a[252:255], v41, s[92:95], 0 offen offset:3072// 000000007FD4: E05C1C00 8097FC29
	v_mfma_f32_16x16x32_fp8_fp8 v[188:191], a[122:123], v[218:219], v[188:191]// 000000007FDC: D3F300BC 0EF3B57A
	v_mfma_f32_16x16x32_fp8_fp8 v[188:191], a[124:125], v[220:221], v[188:191]// 000000007FE4: D3F300BC 0EF3B97C
	v_mfma_f32_16x16x32_fp8_fp8 v[188:191], a[126:127], v[222:223], v[188:191]// 000000007FEC: D3F300BC 0EF3BD7E
	s_waitcnt vmcnt(24)                                        // 000000007FF4: BF8C4F78
	s_barrier                                                  // 000000007FF8: BF8A0000
	v_mfma_f32_16x16x32_fp8_fp8 v[64:67], a[128:129], v[192:193], v[64:67]// 000000007FFC: D3F30040 0D038180
	buffer_load_dwordx4 a[0:3], v34, s[24:27], 0 offen         // 000000008004: E05C1000 80860022
	v_mfma_f32_16x16x32_fp8_fp8 v[64:67], a[130:131], v[194:195], v[64:67]// 00000000800C: D3F30040 0D038582
	v_mfma_f32_16x16x32_fp8_fp8 v[64:67], a[132:133], v[196:197], v[64:67]// 000000008014: D3F30040 0D038984
	v_mfma_f32_16x16x32_fp8_fp8 v[64:67], a[134:135], v[198:199], v[64:67]// 00000000801C: D3F30040 0D038D86
	v_mfma_f32_16x16x32_fp8_fp8 v[64:67], a[136:137], v[200:201], v[64:67]// 000000008024: D3F30040 0D039188
	buffer_load_dwordx4 a[4:7], v34, s[24:27], 0 offen offset:1024// 00000000802C: E05C1400 80860422
	v_mfma_f32_16x16x32_fp8_fp8 v[64:67], a[138:139], v[202:203], v[64:67]// 000000008034: D3F30040 0D03958A
	v_mfma_f32_16x16x32_fp8_fp8 v[64:67], a[140:141], v[204:205], v[64:67]// 00000000803C: D3F30040 0D03998C
	v_mfma_f32_16x16x32_fp8_fp8 v[64:67], a[142:143], v[206:207], v[64:67]// 000000008044: D3F30040 0D039D8E
	v_mfma_f32_16x16x32_fp8_fp8 v[68:71], a[128:129], v[208:209], v[68:71]// 00000000804C: D3F30044 0D13A180
	buffer_load_dwordx4 a[8:11], v34, s[24:27], 0 offen offset:2048// 000000008054: E05C1800 80860822
	v_mfma_f32_16x16x32_fp8_fp8 v[68:71], a[130:131], v[210:211], v[68:71]// 00000000805C: D3F30044 0D13A582
	v_mfma_f32_16x16x32_fp8_fp8 v[68:71], a[132:133], v[212:213], v[68:71]// 000000008064: D3F30044 0D13A984
	v_mfma_f32_16x16x32_fp8_fp8 v[68:71], a[134:135], v[214:215], v[68:71]// 00000000806C: D3F30044 0D13AD86
	v_mfma_f32_16x16x32_fp8_fp8 v[68:71], a[136:137], v[216:217], v[68:71]// 000000008074: D3F30044 0D13B188
	buffer_load_dwordx4 a[12:15], v34, s[24:27], 0 offen offset:3072// 00000000807C: E05C1C00 80860C22
	v_mfma_f32_16x16x32_fp8_fp8 v[68:71], a[138:139], v[218:219], v[68:71]// 000000008084: D3F30044 0D13B58A
	v_mfma_f32_16x16x32_fp8_fp8 v[68:71], a[140:141], v[220:221], v[68:71]// 00000000808C: D3F30044 0D13B98C
	v_mfma_f32_16x16x32_fp8_fp8 v[68:71], a[142:143], v[222:223], v[68:71]// 000000008094: D3F30044 0D13BD8E
	v_mfma_f32_16x16x32_fp8_fp8 v[72:75], a[144:145], v[192:193], v[72:75]// 00000000809C: D3F30048 0D238190
	buffer_load_dwordx4 a[16:19], v35, s[24:27], 0 offen       // 0000000080A4: E05C1000 80861023
	v_mfma_f32_16x16x32_fp8_fp8 v[72:75], a[146:147], v[194:195], v[72:75]// 0000000080AC: D3F30048 0D238592
	v_mfma_f32_16x16x32_fp8_fp8 v[72:75], a[148:149], v[196:197], v[72:75]// 0000000080B4: D3F30048 0D238994
	v_mfma_f32_16x16x32_fp8_fp8 v[72:75], a[150:151], v[198:199], v[72:75]// 0000000080BC: D3F30048 0D238D96
	v_mfma_f32_16x16x32_fp8_fp8 v[72:75], a[152:153], v[200:201], v[72:75]// 0000000080C4: D3F30048 0D239198
	buffer_load_dwordx4 a[20:23], v35, s[24:27], 0 offen offset:1024// 0000000080CC: E05C1400 80861423
	v_mfma_f32_16x16x32_fp8_fp8 v[72:75], a[154:155], v[202:203], v[72:75]// 0000000080D4: D3F30048 0D23959A
	v_mfma_f32_16x16x32_fp8_fp8 v[72:75], a[156:157], v[204:205], v[72:75]// 0000000080DC: D3F30048 0D23999C
	v_mfma_f32_16x16x32_fp8_fp8 v[72:75], a[158:159], v[206:207], v[72:75]// 0000000080E4: D3F30048 0D239D9E
	v_mfma_f32_16x16x32_fp8_fp8 v[76:79], a[144:145], v[208:209], v[76:79]// 0000000080EC: D3F3004C 0D33A190
	buffer_load_dwordx4 a[24:27], v35, s[24:27], 0 offen offset:2048// 0000000080F4: E05C1800 80861823
	v_mfma_f32_16x16x32_fp8_fp8 v[76:79], a[146:147], v[210:211], v[76:79]// 0000000080FC: D3F3004C 0D33A592
	v_mfma_f32_16x16x32_fp8_fp8 v[76:79], a[148:149], v[212:213], v[76:79]// 000000008104: D3F3004C 0D33A994
	v_mfma_f32_16x16x32_fp8_fp8 v[76:79], a[150:151], v[214:215], v[76:79]// 00000000810C: D3F3004C 0D33AD96
	v_mfma_f32_16x16x32_fp8_fp8 v[76:79], a[152:153], v[216:217], v[76:79]// 000000008114: D3F3004C 0D33B198
	buffer_load_dwordx4 a[28:31], v35, s[24:27], 0 offen offset:3072// 00000000811C: E05C1C00 80861C23
	v_mfma_f32_16x16x32_fp8_fp8 v[76:79], a[154:155], v[218:219], v[76:79]// 000000008124: D3F3004C 0D33B59A
	v_mfma_f32_16x16x32_fp8_fp8 v[76:79], a[156:157], v[220:221], v[76:79]// 00000000812C: D3F3004C 0D33B99C
	v_mfma_f32_16x16x32_fp8_fp8 v[76:79], a[158:159], v[222:223], v[76:79]// 000000008134: D3F3004C 0D33BD9E
	s_waitcnt vmcnt(28)                                        // 00000000813C: BF8C4F7C
	v_mfma_f32_16x16x32_fp8_fp8 v[80:83], a[160:161], v[192:193], v[80:83]// 000000008140: D3F30050 0D4381A0
	buffer_load_dwordx4 a[32:35], v36, s[24:27], 0 offen       // 000000008148: E05C1000 80862024
	v_mfma_f32_16x16x32_fp8_fp8 v[80:83], a[162:163], v[194:195], v[80:83]// 000000008150: D3F30050 0D4385A2
	v_mfma_f32_16x16x32_fp8_fp8 v[80:83], a[164:165], v[196:197], v[80:83]// 000000008158: D3F30050 0D4389A4
	ds_read_b128 v[224:227], v2 offset:8320                    // 000000008160: D9FE2080 E0000002
	v_mfma_f32_16x16x32_fp8_fp8 v[80:83], a[166:167], v[198:199], v[80:83]// 000000008168: D3F30050 0D438DA6
	v_mfma_f32_16x16x32_fp8_fp8 v[80:83], a[168:169], v[200:201], v[80:83]// 000000008170: D3F30050 0D4391A8
	buffer_load_dwordx4 a[36:39], v36, s[24:27], 0 offen offset:1024// 000000008178: E05C1400 80862424
	v_mfma_f32_16x16x32_fp8_fp8 v[80:83], a[170:171], v[202:203], v[80:83]// 000000008180: D3F30050 0D4395AA
	v_mfma_f32_16x16x32_fp8_fp8 v[80:83], a[172:173], v[204:205], v[80:83]// 000000008188: D3F30050 0D4399AC
	ds_read_b128 v[228:231], v2 offset:8384                    // 000000008190: D9FE20C0 E4000002
	v_mfma_f32_16x16x32_fp8_fp8 v[80:83], a[174:175], v[206:207], v[80:83]// 000000008198: D3F30050 0D439DAE
	v_mfma_f32_16x16x32_fp8_fp8 v[84:87], a[160:161], v[208:209], v[84:87]// 0000000081A0: D3F30054 0D53A1A0
	buffer_load_dwordx4 a[40:43], v36, s[24:27], 0 offen offset:2048// 0000000081A8: E05C1800 80862824
	v_mfma_f32_16x16x32_fp8_fp8 v[84:87], a[162:163], v[210:211], v[84:87]// 0000000081B0: D3F30054 0D53A5A2
	v_mfma_f32_16x16x32_fp8_fp8 v[84:87], a[164:165], v[212:213], v[84:87]// 0000000081B8: D3F30054 0D53A9A4
	ds_read_b128 v[232:235], v2 offset:8448                    // 0000000081C0: D9FE2100 E8000002
	v_mfma_f32_16x16x32_fp8_fp8 v[84:87], a[166:167], v[214:215], v[84:87]// 0000000081C8: D3F30054 0D53ADA6
	v_mfma_f32_16x16x32_fp8_fp8 v[84:87], a[168:169], v[216:217], v[84:87]// 0000000081D0: D3F30054 0D53B1A8
	buffer_load_dwordx4 a[44:47], v36, s[24:27], 0 offen offset:3072// 0000000081D8: E05C1C00 80862C24
	v_mfma_f32_16x16x32_fp8_fp8 v[84:87], a[170:171], v[218:219], v[84:87]// 0000000081E0: D3F30054 0D53B5AA
	v_mfma_f32_16x16x32_fp8_fp8 v[84:87], a[172:173], v[220:221], v[84:87]// 0000000081E8: D3F30054 0D53B9AC
	ds_read_b128 v[236:239], v2 offset:8512                    // 0000000081F0: D9FE2140 EC000002
	v_mfma_f32_16x16x32_fp8_fp8 v[84:87], a[174:175], v[222:223], v[84:87]// 0000000081F8: D3F30054 0D53BDAE
	s_waitcnt vmcnt(28)                                        // 000000008200: BF8C4F7C
	v_mfma_f32_16x16x32_fp8_fp8 v[88:91], a[176:177], v[192:193], v[88:91]// 000000008204: D3F30058 0D6381B0
	buffer_load_dwordx4 a[48:51], v37, s[24:27], 0 offen       // 00000000820C: E05C1000 80863025
	v_mfma_f32_16x16x32_fp8_fp8 v[88:91], a[178:179], v[194:195], v[88:91]// 000000008214: D3F30058 0D6385B2
	v_mfma_f32_16x16x32_fp8_fp8 v[88:91], a[180:181], v[196:197], v[88:91]// 00000000821C: D3F30058 0D6389B4
	ds_read_b128 v[240:243], v2 offset:9344                    // 000000008224: D9FE2480 F0000002
	v_mfma_f32_16x16x32_fp8_fp8 v[88:91], a[182:183], v[198:199], v[88:91]// 00000000822C: D3F30058 0D638DB6
	v_mfma_f32_16x16x32_fp8_fp8 v[88:91], a[184:185], v[200:201], v[88:91]// 000000008234: D3F30058 0D6391B8
	buffer_load_dwordx4 a[52:55], v37, s[24:27], 0 offen offset:1024// 00000000823C: E05C1400 80863425
	v_mfma_f32_16x16x32_fp8_fp8 v[88:91], a[186:187], v[202:203], v[88:91]// 000000008244: D3F30058 0D6395BA
	v_mfma_f32_16x16x32_fp8_fp8 v[88:91], a[188:189], v[204:205], v[88:91]// 00000000824C: D3F30058 0D6399BC
	ds_read_b128 v[244:247], v2 offset:9408                    // 000000008254: D9FE24C0 F4000002
	v_mfma_f32_16x16x32_fp8_fp8 v[88:91], a[190:191], v[206:207], v[88:91]// 00000000825C: D3F30058 0D639DBE
	v_mfma_f32_16x16x32_fp8_fp8 v[92:95], a[176:177], v[208:209], v[92:95]// 000000008264: D3F3005C 0D73A1B0
	buffer_load_dwordx4 a[56:59], v37, s[24:27], 0 offen offset:2048// 00000000826C: E05C1800 80863825
	v_mfma_f32_16x16x32_fp8_fp8 v[92:95], a[178:179], v[210:211], v[92:95]// 000000008274: D3F3005C 0D73A5B2
	v_mfma_f32_16x16x32_fp8_fp8 v[92:95], a[180:181], v[212:213], v[92:95]// 00000000827C: D3F3005C 0D73A9B4
	ds_read_b128 v[248:251], v2 offset:9472                    // 000000008284: D9FE2500 F8000002
	v_mfma_f32_16x16x32_fp8_fp8 v[92:95], a[182:183], v[214:215], v[92:95]// 00000000828C: D3F3005C 0D73ADB6
	v_mfma_f32_16x16x32_fp8_fp8 v[92:95], a[184:185], v[216:217], v[92:95]// 000000008294: D3F3005C 0D73B1B8
	buffer_load_dwordx4 a[60:63], v37, s[24:27], 0 offen offset:3072// 00000000829C: E05C1C00 80863C25
	v_mfma_f32_16x16x32_fp8_fp8 v[92:95], a[186:187], v[218:219], v[92:95]// 0000000082A4: D3F3005C 0D73B5BA
	v_mfma_f32_16x16x32_fp8_fp8 v[92:95], a[188:189], v[220:221], v[92:95]// 0000000082AC: D3F3005C 0D73B9BC
	ds_read_b128 v[252:255], v2 offset:9536                    // 0000000082B4: D9FE2540 FC000002
	v_mfma_f32_16x16x32_fp8_fp8 v[92:95], a[190:191], v[222:223], v[92:95]// 0000000082BC: D3F3005C 0D73BDBE
	s_waitcnt vmcnt(28)                                        // 0000000082C4: BF8C4F7C
	v_mfma_f32_16x16x32_fp8_fp8 v[96:99], a[192:193], v[192:193], v[96:99]// 0000000082C8: D3F30060 0D8381C0
	buffer_load_dwordx4 a[64:67], v38, s[24:27], 0 offen       // 0000000082D0: E05C1000 80864026
	v_mfma_f32_16x16x32_fp8_fp8 v[96:99], a[194:195], v[194:195], v[96:99]// 0000000082D8: D3F30060 0D8385C2
	v_mfma_f32_16x16x32_fp8_fp8 v[96:99], a[196:197], v[196:197], v[96:99]// 0000000082E0: D3F30060 0D8389C4
	v_mfma_f32_16x16x32_fp8_fp8 v[96:99], a[198:199], v[198:199], v[96:99]// 0000000082E8: D3F30060 0D838DC6
	v_mfma_f32_16x16x32_fp8_fp8 v[96:99], a[200:201], v[200:201], v[96:99]// 0000000082F0: D3F30060 0D8391C8
	buffer_load_dwordx4 a[68:71], v38, s[24:27], 0 offen offset:1024// 0000000082F8: E05C1400 80864426
	v_mfma_f32_16x16x32_fp8_fp8 v[96:99], a[202:203], v[202:203], v[96:99]// 000000008300: D3F30060 0D8395CA
	v_mfma_f32_16x16x32_fp8_fp8 v[96:99], a[204:205], v[204:205], v[96:99]// 000000008308: D3F30060 0D8399CC
	v_mfma_f32_16x16x32_fp8_fp8 v[96:99], a[206:207], v[206:207], v[96:99]// 000000008310: D3F30060 0D839DCE
	v_mfma_f32_16x16x32_fp8_fp8 v[100:103], a[192:193], v[208:209], v[100:103]// 000000008318: D3F30064 0D93A1C0
	buffer_load_dwordx4 a[72:75], v38, s[24:27], 0 offen offset:2048// 000000008320: E05C1800 80864826
	v_mfma_f32_16x16x32_fp8_fp8 v[100:103], a[194:195], v[210:211], v[100:103]// 000000008328: D3F30064 0D93A5C2
	v_mfma_f32_16x16x32_fp8_fp8 v[100:103], a[196:197], v[212:213], v[100:103]// 000000008330: D3F30064 0D93A9C4
	v_mfma_f32_16x16x32_fp8_fp8 v[100:103], a[198:199], v[214:215], v[100:103]// 000000008338: D3F30064 0D93ADC6
	v_mfma_f32_16x16x32_fp8_fp8 v[100:103], a[200:201], v[216:217], v[100:103]// 000000008340: D3F30064 0D93B1C8
	buffer_load_dwordx4 a[76:79], v38, s[24:27], 0 offen offset:3072// 000000008348: E05C1C00 80864C26
	v_mfma_f32_16x16x32_fp8_fp8 v[100:103], a[202:203], v[218:219], v[100:103]// 000000008350: D3F30064 0D93B5CA
	v_mfma_f32_16x16x32_fp8_fp8 v[100:103], a[204:205], v[220:221], v[100:103]// 000000008358: D3F30064 0D93B9CC
	v_mfma_f32_16x16x32_fp8_fp8 v[100:103], a[206:207], v[222:223], v[100:103]// 000000008360: D3F30064 0D93BDCE
	s_waitcnt vmcnt(28)                                        // 000000008368: BF8C4F7C
	v_mfma_f32_16x16x32_fp8_fp8 v[104:107], a[208:209], v[192:193], v[104:107]// 00000000836C: D3F30068 0DA381D0
	buffer_load_dwordx4 a[80:83], v39, s[24:27], 0 offen       // 000000008374: E05C1000 80865027
	v_mfma_f32_16x16x32_fp8_fp8 v[104:107], a[210:211], v[194:195], v[104:107]// 00000000837C: D3F30068 0DA385D2
	v_mfma_f32_16x16x32_fp8_fp8 v[104:107], a[212:213], v[196:197], v[104:107]// 000000008384: D3F30068 0DA389D4
	v_mfma_f32_16x16x32_fp8_fp8 v[104:107], a[214:215], v[198:199], v[104:107]// 00000000838C: D3F30068 0DA38DD6
	v_mfma_f32_16x16x32_fp8_fp8 v[104:107], a[216:217], v[200:201], v[104:107]// 000000008394: D3F30068 0DA391D8
	buffer_load_dwordx4 a[84:87], v39, s[24:27], 0 offen offset:1024// 00000000839C: E05C1400 80865427
	v_mfma_f32_16x16x32_fp8_fp8 v[104:107], a[218:219], v[202:203], v[104:107]// 0000000083A4: D3F30068 0DA395DA
	v_mfma_f32_16x16x32_fp8_fp8 v[104:107], a[220:221], v[204:205], v[104:107]// 0000000083AC: D3F30068 0DA399DC
	v_mfma_f32_16x16x32_fp8_fp8 v[104:107], a[222:223], v[206:207], v[104:107]// 0000000083B4: D3F30068 0DA39DDE
	v_mfma_f32_16x16x32_fp8_fp8 v[108:111], a[208:209], v[208:209], v[108:111]// 0000000083BC: D3F3006C 0DB3A1D0
	buffer_load_dwordx4 a[88:91], v39, s[24:27], 0 offen offset:2048// 0000000083C4: E05C1800 80865827
	v_mfma_f32_16x16x32_fp8_fp8 v[108:111], a[210:211], v[210:211], v[108:111]// 0000000083CC: D3F3006C 0DB3A5D2
	v_mfma_f32_16x16x32_fp8_fp8 v[108:111], a[212:213], v[212:213], v[108:111]// 0000000083D4: D3F3006C 0DB3A9D4
	v_mfma_f32_16x16x32_fp8_fp8 v[108:111], a[214:215], v[214:215], v[108:111]// 0000000083DC: D3F3006C 0DB3ADD6
	v_mfma_f32_16x16x32_fp8_fp8 v[108:111], a[216:217], v[216:217], v[108:111]// 0000000083E4: D3F3006C 0DB3B1D8
	buffer_load_dwordx4 a[92:95], v39, s[24:27], 0 offen offset:3072// 0000000083EC: E05C1C00 80865C27
	v_mfma_f32_16x16x32_fp8_fp8 v[108:111], a[218:219], v[218:219], v[108:111]// 0000000083F4: D3F3006C 0DB3B5DA
	v_mfma_f32_16x16x32_fp8_fp8 v[108:111], a[220:221], v[220:221], v[108:111]// 0000000083FC: D3F3006C 0DB3B9DC
	v_mfma_f32_16x16x32_fp8_fp8 v[108:111], a[222:223], v[222:223], v[108:111]// 000000008404: D3F3006C 0DB3BDDE
	s_waitcnt vmcnt(28)                                        // 00000000840C: BF8C4F7C
	v_mfma_f32_16x16x32_fp8_fp8 v[112:115], a[224:225], v[192:193], v[112:115]// 000000008410: D3F30070 0DC381E0
	buffer_load_dwordx4 a[96:99], v40, s[24:27], 0 offen       // 000000008418: E05C1000 80866028
	v_mfma_f32_16x16x32_fp8_fp8 v[112:115], a[226:227], v[194:195], v[112:115]// 000000008420: D3F30070 0DC385E2
	v_mfma_f32_16x16x32_fp8_fp8 v[112:115], a[228:229], v[196:197], v[112:115]// 000000008428: D3F30070 0DC389E4
	v_mfma_f32_16x16x32_fp8_fp8 v[112:115], a[230:231], v[198:199], v[112:115]// 000000008430: D3F30070 0DC38DE6
	v_mfma_f32_16x16x32_fp8_fp8 v[112:115], a[232:233], v[200:201], v[112:115]// 000000008438: D3F30070 0DC391E8
	buffer_load_dwordx4 a[100:103], v40, s[24:27], 0 offen offset:1024// 000000008440: E05C1400 80866428
	v_mfma_f32_16x16x32_fp8_fp8 v[112:115], a[234:235], v[202:203], v[112:115]// 000000008448: D3F30070 0DC395EA
	v_mfma_f32_16x16x32_fp8_fp8 v[112:115], a[236:237], v[204:205], v[112:115]// 000000008450: D3F30070 0DC399EC
	v_mfma_f32_16x16x32_fp8_fp8 v[112:115], a[238:239], v[206:207], v[112:115]// 000000008458: D3F30070 0DC39DEE
	v_mfma_f32_16x16x32_fp8_fp8 v[116:119], a[224:225], v[208:209], v[116:119]// 000000008460: D3F30074 0DD3A1E0
	buffer_load_dwordx4 a[104:107], v40, s[24:27], 0 offen offset:2048// 000000008468: E05C1800 80866828
	v_mfma_f32_16x16x32_fp8_fp8 v[116:119], a[226:227], v[210:211], v[116:119]// 000000008470: D3F30074 0DD3A5E2
	v_mfma_f32_16x16x32_fp8_fp8 v[116:119], a[228:229], v[212:213], v[116:119]// 000000008478: D3F30074 0DD3A9E4
	v_mfma_f32_16x16x32_fp8_fp8 v[116:119], a[230:231], v[214:215], v[116:119]// 000000008480: D3F30074 0DD3ADE6
	v_mfma_f32_16x16x32_fp8_fp8 v[116:119], a[232:233], v[216:217], v[116:119]// 000000008488: D3F30074 0DD3B1E8
	buffer_load_dwordx4 a[108:111], v40, s[24:27], 0 offen offset:3072// 000000008490: E05C1C00 80866C28
	v_mfma_f32_16x16x32_fp8_fp8 v[116:119], a[234:235], v[218:219], v[116:119]// 000000008498: D3F30074 0DD3B5EA
	v_mfma_f32_16x16x32_fp8_fp8 v[116:119], a[236:237], v[220:221], v[116:119]// 0000000084A0: D3F30074 0DD3B9EC
	v_mfma_f32_16x16x32_fp8_fp8 v[116:119], a[238:239], v[222:223], v[116:119]// 0000000084A8: D3F30074 0DD3BDEE
	s_waitcnt vmcnt(28)                                        // 0000000084B0: BF8C4F7C
	v_mfma_f32_16x16x32_fp8_fp8 v[120:123], a[240:241], v[192:193], v[120:123]// 0000000084B4: D3F30078 0DE381F0
	buffer_load_dwordx4 a[112:115], v41, s[24:27], 0 offen     // 0000000084BC: E05C1000 80867029
	v_mfma_f32_16x16x32_fp8_fp8 v[120:123], a[242:243], v[194:195], v[120:123]// 0000000084C4: D3F30078 0DE385F2
	v_mfma_f32_16x16x32_fp8_fp8 v[120:123], a[244:245], v[196:197], v[120:123]// 0000000084CC: D3F30078 0DE389F4
	v_mfma_f32_16x16x32_fp8_fp8 v[120:123], a[246:247], v[198:199], v[120:123]// 0000000084D4: D3F30078 0DE38DF6
	v_mfma_f32_16x16x32_fp8_fp8 v[120:123], a[248:249], v[200:201], v[120:123]// 0000000084DC: D3F30078 0DE391F8
	buffer_load_dwordx4 a[116:119], v41, s[24:27], 0 offen offset:1024// 0000000084E4: E05C1400 80867429
	v_mfma_f32_16x16x32_fp8_fp8 v[120:123], a[250:251], v[202:203], v[120:123]// 0000000084EC: D3F30078 0DE395FA
	v_mfma_f32_16x16x32_fp8_fp8 v[120:123], a[252:253], v[204:205], v[120:123]// 0000000084F4: D3F30078 0DE399FC
	v_mfma_f32_16x16x32_fp8_fp8 v[120:123], a[254:255], v[206:207], v[120:123]// 0000000084FC: D3F30078 0DE39DFE
	v_mfma_f32_16x16x32_fp8_fp8 v[124:127], a[240:241], v[208:209], v[124:127]// 000000008504: D3F3007C 0DF3A1F0
	buffer_load_dwordx4 a[120:123], v41, s[24:27], 0 offen offset:2048// 00000000850C: E05C1800 80867829
	v_mfma_f32_16x16x32_fp8_fp8 v[124:127], a[242:243], v[210:211], v[124:127]// 000000008514: D3F3007C 0DF3A5F2
	v_mfma_f32_16x16x32_fp8_fp8 v[124:127], a[244:245], v[212:213], v[124:127]// 00000000851C: D3F3007C 0DF3A9F4
	v_mfma_f32_16x16x32_fp8_fp8 v[124:127], a[246:247], v[214:215], v[124:127]// 000000008524: D3F3007C 0DF3ADF6
	v_mfma_f32_16x16x32_fp8_fp8 v[124:127], a[248:249], v[216:217], v[124:127]// 00000000852C: D3F3007C 0DF3B1F8
	buffer_load_dwordx4 a[124:127], v41, s[24:27], 0 offen offset:3072// 000000008534: E05C1C00 80867C29
	v_mfma_f32_16x16x32_fp8_fp8 v[124:127], a[250:251], v[218:219], v[124:127]// 00000000853C: D3F3007C 0DF3B5FA
	v_mfma_f32_16x16x32_fp8_fp8 v[124:127], a[252:253], v[220:221], v[124:127]// 000000008544: D3F3007C 0DF3B9FC
	v_mfma_f32_16x16x32_fp8_fp8 v[124:127], a[254:255], v[222:223], v[124:127]// 00000000854C: D3F3007C 0DF3BDFE
	s_add_u32 s60, 0x200, s80                                  // 000000008554: 803C50FF 00000200
	s_cmp_lt_u32 s60, s81                                      // 00000000855C: BF0A513C
	s_cselect_b32 s57, s57, 0                                  // 000000008560: 85398039
	s_add_u32 s60, 0x200, s80                                  // 000000008564: 803C50FF 00000200
	s_cmp_lt_u32 s60, s81                                      // 00000000856C: BF0A513C
	s_cselect_b32 s58, s58, 0                                  // 000000008570: 853A803A
	s_add_u32 s20, s57, s20                                    // 000000008574: 80141439
	s_addc_u32 s21, 0, s21                                     // 000000008578: 82151580
	s_add_u32 s24, s58, s24                                    // 00000000857C: 8018183A
	s_addc_u32 s25, 0, s25                                     // 000000008580: 82191980
	s_add_u32 s92, s90, s92                                    // 000000008584: 805C5C5A
	s_addc_u32 s93, 0, s93                                     // 000000008588: 825D5D80
	s_addk_i32 s80, 0x100                                      // 00000000858C: B7500100
	s_cmp_lt_i32 s80, s81                                      // 000000008590: BF045150
	s_cbranch_scc0 label_18B7                                  // 000000008594: BF8402D1
	s_waitcnt vmcnt(24) lgkmcnt(0)                             // 000000008598: BF8C4078
	s_barrier                                                  // 00000000859C: BF8A0000
	v_mfma_f32_16x16x32_fp8_fp8 v[128:131], a[0:1], v[224:225], v[128:131]// 0000000085A0: D3F30080 0E03C100
	buffer_load_dwordx4 a[128:131], v34, s[92:95], 0 offen     // 0000000085A8: E05C1000 80978022
	v_mfma_f32_16x16x32_fp8_fp8 v[128:131], a[2:3], v[226:227], v[128:131]// 0000000085B0: D3F30080 0E03C502
	v_mfma_f32_16x16x32_fp8_fp8 v[128:131], a[4:5], v[228:229], v[128:131]// 0000000085B8: D3F30080 0E03C904
	buffer_load_dword v26, s[20:23], 0 offen lds               // 0000000085C0: E0511000 8005001A
	s_add_u32 m0, 0x100, s50                                   // 0000000085C8: 807C32FF 00000100
	v_mfma_f32_16x16x32_fp8_fp8 v[128:131], a[6:7], v[230:231], v[128:131]// 0000000085D0: D3F30080 0E03CD06
	v_mfma_f32_16x16x32_fp8_fp8 v[128:131], a[8:9], v[232:233], v[128:131]// 0000000085D8: D3F30080 0E03D108
	buffer_load_dwordx4 a[132:135], v34, s[92:95], 0 offen offset:1024// 0000000085E0: E05C1400 80978422
	v_mfma_f32_16x16x32_fp8_fp8 v[128:131], a[10:11], v[234:235], v[128:131]// 0000000085E8: D3F30080 0E03D50A
	v_mfma_f32_16x16x32_fp8_fp8 v[128:131], a[12:13], v[236:237], v[128:131]// 0000000085F0: D3F30080 0E03D90C
	buffer_load_dword v27, s[20:23], 0 offen lds               // 0000000085F8: E0511000 8005001B
	s_add_u32 m0, 0x200, s50                                   // 000000008600: 807C32FF 00000200
	v_mfma_f32_16x16x32_fp8_fp8 v[128:131], a[14:15], v[238:239], v[128:131]// 000000008608: D3F30080 0E03DD0E
	v_mfma_f32_16x16x32_fp8_fp8 v[132:135], a[0:1], v[240:241], v[132:135]// 000000008610: D3F30084 0E13E100
	buffer_load_dwordx4 a[136:139], v34, s[92:95], 0 offen offset:2048// 000000008618: E05C1800 80978822
	v_mfma_f32_16x16x32_fp8_fp8 v[132:135], a[2:3], v[242:243], v[132:135]// 000000008620: D3F30084 0E13E502
	v_mfma_f32_16x16x32_fp8_fp8 v[132:135], a[4:5], v[244:245], v[132:135]// 000000008628: D3F30084 0E13E904
	buffer_load_dword v28, s[20:23], 0 offen lds               // 000000008630: E0511000 8005001C
	s_add_u32 m0, 0x300, s50                                   // 000000008638: 807C32FF 00000300
	v_mfma_f32_16x16x32_fp8_fp8 v[132:135], a[6:7], v[246:247], v[132:135]// 000000008640: D3F30084 0E13ED06
	v_mfma_f32_16x16x32_fp8_fp8 v[132:135], a[8:9], v[248:249], v[132:135]// 000000008648: D3F30084 0E13F108
	buffer_load_dwordx4 a[140:143], v34, s[92:95], 0 offen offset:3072// 000000008650: E05C1C00 80978C22
	v_mfma_f32_16x16x32_fp8_fp8 v[132:135], a[10:11], v[250:251], v[132:135]// 000000008658: D3F30084 0E13F50A
	v_mfma_f32_16x16x32_fp8_fp8 v[132:135], a[12:13], v[252:253], v[132:135]// 000000008660: D3F30084 0E13F90C
	buffer_load_dword v29, s[20:23], 0 offen lds               // 000000008668: E0511000 8005001D
	s_add_u32 m0, 0x400, s50                                   // 000000008670: 807C32FF 00000400
	v_mfma_f32_16x16x32_fp8_fp8 v[132:135], a[14:15], v[254:255], v[132:135]// 000000008678: D3F30084 0E13FD0E
	v_mfma_f32_16x16x32_fp8_fp8 v[136:139], a[16:17], v[224:225], v[136:139]// 000000008680: D3F30088 0E23C110
	buffer_load_dwordx4 a[144:147], v35, s[92:95], 0 offen     // 000000008688: E05C1000 80979023
	v_mfma_f32_16x16x32_fp8_fp8 v[136:139], a[18:19], v[226:227], v[136:139]// 000000008690: D3F30088 0E23C512
	v_mfma_f32_16x16x32_fp8_fp8 v[136:139], a[20:21], v[228:229], v[136:139]// 000000008698: D3F30088 0E23C914
	buffer_load_dword v30, s[20:23], 0 offen lds               // 0000000086A0: E0511000 8005001E
	s_add_u32 m0, 0x500, s50                                   // 0000000086A8: 807C32FF 00000500
	v_mfma_f32_16x16x32_fp8_fp8 v[136:139], a[22:23], v[230:231], v[136:139]// 0000000086B0: D3F30088 0E23CD16
	v_mfma_f32_16x16x32_fp8_fp8 v[136:139], a[24:25], v[232:233], v[136:139]// 0000000086B8: D3F30088 0E23D118
	buffer_load_dwordx4 a[148:151], v35, s[92:95], 0 offen offset:1024// 0000000086C0: E05C1400 80979423
	v_mfma_f32_16x16x32_fp8_fp8 v[136:139], a[26:27], v[234:235], v[136:139]// 0000000086C8: D3F30088 0E23D51A
	v_mfma_f32_16x16x32_fp8_fp8 v[136:139], a[28:29], v[236:237], v[136:139]// 0000000086D0: D3F30088 0E23D91C
	buffer_load_dword v31, s[20:23], 0 offen lds               // 0000000086D8: E0511000 8005001F
	s_add_u32 m0, 0x600, s50                                   // 0000000086E0: 807C32FF 00000600
	v_mfma_f32_16x16x32_fp8_fp8 v[136:139], a[30:31], v[238:239], v[136:139]// 0000000086E8: D3F30088 0E23DD1E
	v_mfma_f32_16x16x32_fp8_fp8 v[140:143], a[16:17], v[240:241], v[140:143]// 0000000086F0: D3F3008C 0E33E110
	buffer_load_dwordx4 a[152:155], v35, s[92:95], 0 offen offset:2048// 0000000086F8: E05C1800 80979823
	v_mfma_f32_16x16x32_fp8_fp8 v[140:143], a[18:19], v[242:243], v[140:143]// 000000008700: D3F3008C 0E33E512
	v_mfma_f32_16x16x32_fp8_fp8 v[140:143], a[20:21], v[244:245], v[140:143]// 000000008708: D3F3008C 0E33E914
	buffer_load_dword v32, s[20:23], 0 offen lds               // 000000008710: E0511000 80050020
	s_add_u32 m0, 0x700, s50                                   // 000000008718: 807C32FF 00000700
	v_mfma_f32_16x16x32_fp8_fp8 v[140:143], a[22:23], v[246:247], v[140:143]// 000000008720: D3F3008C 0E33ED16
	v_mfma_f32_16x16x32_fp8_fp8 v[140:143], a[24:25], v[248:249], v[140:143]// 000000008728: D3F3008C 0E33F118
	buffer_load_dwordx4 a[156:159], v35, s[92:95], 0 offen offset:3072// 000000008730: E05C1C00 80979C23
	v_mfma_f32_16x16x32_fp8_fp8 v[140:143], a[26:27], v[250:251], v[140:143]// 000000008738: D3F3008C 0E33F51A
	v_mfma_f32_16x16x32_fp8_fp8 v[140:143], a[28:29], v[252:253], v[140:143]// 000000008740: D3F3008C 0E33F91C
	buffer_load_dword v33, s[20:23], 0 offen lds               // 000000008748: E0511000 80050021
	s_add_u32 m0, 0, s51                                       // 000000008750: 807C3380
	v_mfma_f32_16x16x32_fp8_fp8 v[140:143], a[30:31], v[254:255], v[140:143]// 000000008754: D3F3008C 0E33FD1E
	s_waitcnt vmcnt(36)                                        // 00000000875C: BF8C8F74
	v_mfma_f32_16x16x32_fp8_fp8 v[144:147], a[32:33], v[224:225], v[144:147]// 000000008760: D3F30090 0E43C120
	buffer_load_dwordx4 a[160:163], v36, s[92:95], 0 offen     // 000000008768: E05C1000 8097A024
	v_mfma_f32_16x16x32_fp8_fp8 v[144:147], a[34:35], v[226:227], v[144:147]// 000000008770: D3F30090 0E43C522
	v_mfma_f32_16x16x32_fp8_fp8 v[144:147], a[36:37], v[228:229], v[144:147]// 000000008778: D3F30090 0E43C924
	v_mfma_f32_16x16x32_fp8_fp8 v[144:147], a[38:39], v[230:231], v[144:147]// 000000008780: D3F30090 0E43CD26
	v_mfma_f32_16x16x32_fp8_fp8 v[144:147], a[40:41], v[232:233], v[144:147]// 000000008788: D3F30090 0E43D128
	buffer_load_dwordx4 a[164:167], v36, s[92:95], 0 offen offset:1024// 000000008790: E05C1400 8097A424
	v_mfma_f32_16x16x32_fp8_fp8 v[144:147], a[42:43], v[234:235], v[144:147]// 000000008798: D3F30090 0E43D52A
	v_mfma_f32_16x16x32_fp8_fp8 v[144:147], a[44:45], v[236:237], v[144:147]// 0000000087A0: D3F30090 0E43D92C
	v_mfma_f32_16x16x32_fp8_fp8 v[144:147], a[46:47], v[238:239], v[144:147]// 0000000087A8: D3F30090 0E43DD2E
	v_mfma_f32_16x16x32_fp8_fp8 v[148:151], a[32:33], v[240:241], v[148:151]// 0000000087B0: D3F30094 0E53E120
	buffer_load_dwordx4 a[168:171], v36, s[92:95], 0 offen offset:2048// 0000000087B8: E05C1800 8097A824
	v_mfma_f32_16x16x32_fp8_fp8 v[148:151], a[34:35], v[242:243], v[148:151]// 0000000087C0: D3F30094 0E53E522
	v_mfma_f32_16x16x32_fp8_fp8 v[148:151], a[36:37], v[244:245], v[148:151]// 0000000087C8: D3F30094 0E53E924
	v_mfma_f32_16x16x32_fp8_fp8 v[148:151], a[38:39], v[246:247], v[148:151]// 0000000087D0: D3F30094 0E53ED26
	v_mfma_f32_16x16x32_fp8_fp8 v[148:151], a[40:41], v[248:249], v[148:151]// 0000000087D8: D3F30094 0E53F128
	buffer_load_dwordx4 a[172:175], v36, s[92:95], 0 offen offset:3072// 0000000087E0: E05C1C00 8097AC24
	v_mfma_f32_16x16x32_fp8_fp8 v[148:151], a[42:43], v[250:251], v[148:151]// 0000000087E8: D3F30094 0E53F52A
	v_mfma_f32_16x16x32_fp8_fp8 v[148:151], a[44:45], v[252:253], v[148:151]// 0000000087F0: D3F30094 0E53F92C
	v_mfma_f32_16x16x32_fp8_fp8 v[148:151], a[46:47], v[254:255], v[148:151]// 0000000087F8: D3F30094 0E53FD2E
	s_waitcnt vmcnt(36)                                        // 000000008800: BF8C8F74
	v_mfma_f32_16x16x32_fp8_fp8 v[152:155], a[48:49], v[224:225], v[152:155]// 000000008804: D3F30098 0E63C130
	buffer_load_dwordx4 a[176:179], v37, s[92:95], 0 offen     // 00000000880C: E05C1000 8097B025
	v_mfma_f32_16x16x32_fp8_fp8 v[152:155], a[50:51], v[226:227], v[152:155]// 000000008814: D3F30098 0E63C532
	v_mfma_f32_16x16x32_fp8_fp8 v[152:155], a[52:53], v[228:229], v[152:155]// 00000000881C: D3F30098 0E63C934
	v_mfma_f32_16x16x32_fp8_fp8 v[152:155], a[54:55], v[230:231], v[152:155]// 000000008824: D3F30098 0E63CD36
	v_mfma_f32_16x16x32_fp8_fp8 v[152:155], a[56:57], v[232:233], v[152:155]// 00000000882C: D3F30098 0E63D138
	buffer_load_dwordx4 a[180:183], v37, s[92:95], 0 offen offset:1024// 000000008834: E05C1400 8097B425
	v_mfma_f32_16x16x32_fp8_fp8 v[152:155], a[58:59], v[234:235], v[152:155]// 00000000883C: D3F30098 0E63D53A
	v_mfma_f32_16x16x32_fp8_fp8 v[152:155], a[60:61], v[236:237], v[152:155]// 000000008844: D3F30098 0E63D93C
	v_mfma_f32_16x16x32_fp8_fp8 v[152:155], a[62:63], v[238:239], v[152:155]// 00000000884C: D3F30098 0E63DD3E
	v_mfma_f32_16x16x32_fp8_fp8 v[156:159], a[48:49], v[240:241], v[156:159]// 000000008854: D3F3009C 0E73E130
	buffer_load_dwordx4 a[184:187], v37, s[92:95], 0 offen offset:2048// 00000000885C: E05C1800 8097B825
	v_mfma_f32_16x16x32_fp8_fp8 v[156:159], a[50:51], v[242:243], v[156:159]// 000000008864: D3F3009C 0E73E532
	v_mfma_f32_16x16x32_fp8_fp8 v[156:159], a[52:53], v[244:245], v[156:159]// 00000000886C: D3F3009C 0E73E934
	v_mfma_f32_16x16x32_fp8_fp8 v[156:159], a[54:55], v[246:247], v[156:159]// 000000008874: D3F3009C 0E73ED36
	v_mfma_f32_16x16x32_fp8_fp8 v[156:159], a[56:57], v[248:249], v[156:159]// 00000000887C: D3F3009C 0E73F138
	buffer_load_dwordx4 a[188:191], v37, s[92:95], 0 offen offset:3072// 000000008884: E05C1C00 8097BC25
	v_mfma_f32_16x16x32_fp8_fp8 v[156:159], a[58:59], v[250:251], v[156:159]// 00000000888C: D3F3009C 0E73F53A
	v_mfma_f32_16x16x32_fp8_fp8 v[156:159], a[60:61], v[252:253], v[156:159]// 000000008894: D3F3009C 0E73F93C
	v_mfma_f32_16x16x32_fp8_fp8 v[156:159], a[62:63], v[254:255], v[156:159]// 00000000889C: D3F3009C 0E73FD3E
	s_waitcnt vmcnt(36)                                        // 0000000088A4: BF8C8F74
	v_mfma_f32_16x16x32_fp8_fp8 v[160:163], a[64:65], v[224:225], v[160:163]// 0000000088A8: D3F300A0 0E83C140
	buffer_load_dwordx4 a[192:195], v38, s[92:95], 0 offen     // 0000000088B0: E05C1000 8097C026
	v_mfma_f32_16x16x32_fp8_fp8 v[160:163], a[66:67], v[226:227], v[160:163]// 0000000088B8: D3F300A0 0E83C542
	v_mfma_f32_16x16x32_fp8_fp8 v[160:163], a[68:69], v[228:229], v[160:163]// 0000000088C0: D3F300A0 0E83C944
	v_mfma_f32_16x16x32_fp8_fp8 v[160:163], a[70:71], v[230:231], v[160:163]// 0000000088C8: D3F300A0 0E83CD46
	v_mfma_f32_16x16x32_fp8_fp8 v[160:163], a[72:73], v[232:233], v[160:163]// 0000000088D0: D3F300A0 0E83D148
	buffer_load_dwordx4 a[196:199], v38, s[92:95], 0 offen offset:1024// 0000000088D8: E05C1400 8097C426
	v_mfma_f32_16x16x32_fp8_fp8 v[160:163], a[74:75], v[234:235], v[160:163]// 0000000088E0: D3F300A0 0E83D54A
	v_mfma_f32_16x16x32_fp8_fp8 v[160:163], a[76:77], v[236:237], v[160:163]// 0000000088E8: D3F300A0 0E83D94C
	v_mfma_f32_16x16x32_fp8_fp8 v[160:163], a[78:79], v[238:239], v[160:163]// 0000000088F0: D3F300A0 0E83DD4E
	v_mfma_f32_16x16x32_fp8_fp8 v[164:167], a[64:65], v[240:241], v[164:167]// 0000000088F8: D3F300A4 0E93E140
	buffer_load_dwordx4 a[200:203], v38, s[92:95], 0 offen offset:2048// 000000008900: E05C1800 8097C826
	v_mfma_f32_16x16x32_fp8_fp8 v[164:167], a[66:67], v[242:243], v[164:167]// 000000008908: D3F300A4 0E93E542
	v_mfma_f32_16x16x32_fp8_fp8 v[164:167], a[68:69], v[244:245], v[164:167]// 000000008910: D3F300A4 0E93E944
	v_mfma_f32_16x16x32_fp8_fp8 v[164:167], a[70:71], v[246:247], v[164:167]// 000000008918: D3F300A4 0E93ED46
	v_mfma_f32_16x16x32_fp8_fp8 v[164:167], a[72:73], v[248:249], v[164:167]// 000000008920: D3F300A4 0E93F148
	buffer_load_dwordx4 a[204:207], v38, s[92:95], 0 offen offset:3072// 000000008928: E05C1C00 8097CC26
	v_mfma_f32_16x16x32_fp8_fp8 v[164:167], a[74:75], v[250:251], v[164:167]// 000000008930: D3F300A4 0E93F54A
	v_mfma_f32_16x16x32_fp8_fp8 v[164:167], a[76:77], v[252:253], v[164:167]// 000000008938: D3F300A4 0E93F94C
	v_mfma_f32_16x16x32_fp8_fp8 v[164:167], a[78:79], v[254:255], v[164:167]// 000000008940: D3F300A4 0E93FD4E
	s_waitcnt vmcnt(36)                                        // 000000008948: BF8C8F74
	v_mfma_f32_16x16x32_fp8_fp8 v[168:171], a[80:81], v[224:225], v[168:171]// 00000000894C: D3F300A8 0EA3C150
	buffer_load_dwordx4 a[208:211], v39, s[92:95], 0 offen     // 000000008954: E05C1000 8097D027
	v_mfma_f32_16x16x32_fp8_fp8 v[168:171], a[82:83], v[226:227], v[168:171]// 00000000895C: D3F300A8 0EA3C552
	v_mfma_f32_16x16x32_fp8_fp8 v[168:171], a[84:85], v[228:229], v[168:171]// 000000008964: D3F300A8 0EA3C954
	v_mfma_f32_16x16x32_fp8_fp8 v[168:171], a[86:87], v[230:231], v[168:171]// 00000000896C: D3F300A8 0EA3CD56
	v_mfma_f32_16x16x32_fp8_fp8 v[168:171], a[88:89], v[232:233], v[168:171]// 000000008974: D3F300A8 0EA3D158
	buffer_load_dwordx4 a[212:215], v39, s[92:95], 0 offen offset:1024// 00000000897C: E05C1400 8097D427
	v_mfma_f32_16x16x32_fp8_fp8 v[168:171], a[90:91], v[234:235], v[168:171]// 000000008984: D3F300A8 0EA3D55A
	v_mfma_f32_16x16x32_fp8_fp8 v[168:171], a[92:93], v[236:237], v[168:171]// 00000000898C: D3F300A8 0EA3D95C
	v_mfma_f32_16x16x32_fp8_fp8 v[168:171], a[94:95], v[238:239], v[168:171]// 000000008994: D3F300A8 0EA3DD5E
	v_mfma_f32_16x16x32_fp8_fp8 v[172:175], a[80:81], v[240:241], v[172:175]// 00000000899C: D3F300AC 0EB3E150
	buffer_load_dwordx4 a[216:219], v39, s[92:95], 0 offen offset:2048// 0000000089A4: E05C1800 8097D827
	v_mfma_f32_16x16x32_fp8_fp8 v[172:175], a[82:83], v[242:243], v[172:175]// 0000000089AC: D3F300AC 0EB3E552
	v_mfma_f32_16x16x32_fp8_fp8 v[172:175], a[84:85], v[244:245], v[172:175]// 0000000089B4: D3F300AC 0EB3E954
	v_mfma_f32_16x16x32_fp8_fp8 v[172:175], a[86:87], v[246:247], v[172:175]// 0000000089BC: D3F300AC 0EB3ED56
	v_mfma_f32_16x16x32_fp8_fp8 v[172:175], a[88:89], v[248:249], v[172:175]// 0000000089C4: D3F300AC 0EB3F158
	buffer_load_dwordx4 a[220:223], v39, s[92:95], 0 offen offset:3072// 0000000089CC: E05C1C00 8097DC27
	v_mfma_f32_16x16x32_fp8_fp8 v[172:175], a[90:91], v[250:251], v[172:175]// 0000000089D4: D3F300AC 0EB3F55A
	v_mfma_f32_16x16x32_fp8_fp8 v[172:175], a[92:93], v[252:253], v[172:175]// 0000000089DC: D3F300AC 0EB3F95C
	v_mfma_f32_16x16x32_fp8_fp8 v[172:175], a[94:95], v[254:255], v[172:175]// 0000000089E4: D3F300AC 0EB3FD5E
	s_waitcnt vmcnt(36)                                        // 0000000089EC: BF8C8F74
	v_mfma_f32_16x16x32_fp8_fp8 v[176:179], a[96:97], v[224:225], v[176:179]// 0000000089F0: D3F300B0 0EC3C160
	buffer_load_dwordx4 a[224:227], v40, s[92:95], 0 offen     // 0000000089F8: E05C1000 8097E028
	v_mfma_f32_16x16x32_fp8_fp8 v[176:179], a[98:99], v[226:227], v[176:179]// 000000008A00: D3F300B0 0EC3C562
	v_mfma_f32_16x16x32_fp8_fp8 v[176:179], a[100:101], v[228:229], v[176:179]// 000000008A08: D3F300B0 0EC3C964
	v_mfma_f32_16x16x32_fp8_fp8 v[176:179], a[102:103], v[230:231], v[176:179]// 000000008A10: D3F300B0 0EC3CD66
	v_mfma_f32_16x16x32_fp8_fp8 v[176:179], a[104:105], v[232:233], v[176:179]// 000000008A18: D3F300B0 0EC3D168
	buffer_load_dwordx4 a[228:231], v40, s[92:95], 0 offen offset:1024// 000000008A20: E05C1400 8097E428
	v_mfma_f32_16x16x32_fp8_fp8 v[176:179], a[106:107], v[234:235], v[176:179]// 000000008A28: D3F300B0 0EC3D56A
	v_mfma_f32_16x16x32_fp8_fp8 v[176:179], a[108:109], v[236:237], v[176:179]// 000000008A30: D3F300B0 0EC3D96C
	v_mfma_f32_16x16x32_fp8_fp8 v[176:179], a[110:111], v[238:239], v[176:179]// 000000008A38: D3F300B0 0EC3DD6E
	v_mfma_f32_16x16x32_fp8_fp8 v[180:183], a[96:97], v[240:241], v[180:183]// 000000008A40: D3F300B4 0ED3E160
	buffer_load_dwordx4 a[232:235], v40, s[92:95], 0 offen offset:2048// 000000008A48: E05C1800 8097E828
	v_mfma_f32_16x16x32_fp8_fp8 v[180:183], a[98:99], v[242:243], v[180:183]// 000000008A50: D3F300B4 0ED3E562
	v_mfma_f32_16x16x32_fp8_fp8 v[180:183], a[100:101], v[244:245], v[180:183]// 000000008A58: D3F300B4 0ED3E964
	v_mfma_f32_16x16x32_fp8_fp8 v[180:183], a[102:103], v[246:247], v[180:183]// 000000008A60: D3F300B4 0ED3ED66
	v_mfma_f32_16x16x32_fp8_fp8 v[180:183], a[104:105], v[248:249], v[180:183]// 000000008A68: D3F300B4 0ED3F168
	buffer_load_dwordx4 a[236:239], v40, s[92:95], 0 offen offset:3072// 000000008A70: E05C1C00 8097EC28
	v_mfma_f32_16x16x32_fp8_fp8 v[180:183], a[106:107], v[250:251], v[180:183]// 000000008A78: D3F300B4 0ED3F56A
	v_mfma_f32_16x16x32_fp8_fp8 v[180:183], a[108:109], v[252:253], v[180:183]// 000000008A80: D3F300B4 0ED3F96C
	v_mfma_f32_16x16x32_fp8_fp8 v[180:183], a[110:111], v[254:255], v[180:183]// 000000008A88: D3F300B4 0ED3FD6E
	s_waitcnt vmcnt(36)                                        // 000000008A90: BF8C8F74
	v_mfma_f32_16x16x32_fp8_fp8 v[184:187], a[112:113], v[224:225], v[184:187]// 000000008A94: D3F300B8 0EE3C170
	buffer_load_dwordx4 a[240:243], v41, s[92:95], 0 offen     // 000000008A9C: E05C1000 8097F029
	v_mfma_f32_16x16x32_fp8_fp8 v[184:187], a[114:115], v[226:227], v[184:187]// 000000008AA4: D3F300B8 0EE3C572
	v_mfma_f32_16x16x32_fp8_fp8 v[184:187], a[116:117], v[228:229], v[184:187]// 000000008AAC: D3F300B8 0EE3C974
	v_mfma_f32_16x16x32_fp8_fp8 v[184:187], a[118:119], v[230:231], v[184:187]// 000000008AB4: D3F300B8 0EE3CD76
	v_mfma_f32_16x16x32_fp8_fp8 v[184:187], a[120:121], v[232:233], v[184:187]// 000000008ABC: D3F300B8 0EE3D178
	buffer_load_dwordx4 a[244:247], v41, s[92:95], 0 offen offset:1024// 000000008AC4: E05C1400 8097F429
	v_mfma_f32_16x16x32_fp8_fp8 v[184:187], a[122:123], v[234:235], v[184:187]// 000000008ACC: D3F300B8 0EE3D57A
	v_mfma_f32_16x16x32_fp8_fp8 v[184:187], a[124:125], v[236:237], v[184:187]// 000000008AD4: D3F300B8 0EE3D97C
	v_mfma_f32_16x16x32_fp8_fp8 v[184:187], a[126:127], v[238:239], v[184:187]// 000000008ADC: D3F300B8 0EE3DD7E
	v_mfma_f32_16x16x32_fp8_fp8 v[188:191], a[112:113], v[240:241], v[188:191]// 000000008AE4: D3F300BC 0EF3E170
	buffer_load_dwordx4 a[248:251], v41, s[92:95], 0 offen offset:2048// 000000008AEC: E05C1800 8097F829
	v_mfma_f32_16x16x32_fp8_fp8 v[188:191], a[114:115], v[242:243], v[188:191]// 000000008AF4: D3F300BC 0EF3E572
	v_mfma_f32_16x16x32_fp8_fp8 v[188:191], a[116:117], v[244:245], v[188:191]// 000000008AFC: D3F300BC 0EF3E974
	v_mfma_f32_16x16x32_fp8_fp8 v[188:191], a[118:119], v[246:247], v[188:191]// 000000008B04: D3F300BC 0EF3ED76
	v_mfma_f32_16x16x32_fp8_fp8 v[188:191], a[120:121], v[248:249], v[188:191]// 000000008B0C: D3F300BC 0EF3F178
	buffer_load_dwordx4 a[252:255], v41, s[92:95], 0 offen offset:3072// 000000008B14: E05C1C00 8097FC29
	v_mfma_f32_16x16x32_fp8_fp8 v[188:191], a[122:123], v[250:251], v[188:191]// 000000008B1C: D3F300BC 0EF3F57A
	v_mfma_f32_16x16x32_fp8_fp8 v[188:191], a[124:125], v[252:253], v[188:191]// 000000008B24: D3F300BC 0EF3F97C
	v_mfma_f32_16x16x32_fp8_fp8 v[188:191], a[126:127], v[254:255], v[188:191]// 000000008B2C: D3F300BC 0EF3FD7E
	s_waitcnt vmcnt(24)                                        // 000000008B34: BF8C4F78
	s_barrier                                                  // 000000008B38: BF8A0000
	v_mfma_f32_16x16x32_fp8_fp8 v[64:67], a[128:129], v[224:225], v[64:67]// 000000008B3C: D3F30040 0D03C180
	buffer_load_dwordx4 a[0:3], v34, s[24:27], 0 offen         // 000000008B44: E05C1000 80860022
	v_mfma_f32_16x16x32_fp8_fp8 v[64:67], a[130:131], v[226:227], v[64:67]// 000000008B4C: D3F30040 0D03C582
	v_mfma_f32_16x16x32_fp8_fp8 v[64:67], a[132:133], v[228:229], v[64:67]// 000000008B54: D3F30040 0D03C984
	v_mfma_f32_16x16x32_fp8_fp8 v[64:67], a[134:135], v[230:231], v[64:67]// 000000008B5C: D3F30040 0D03CD86
	v_mfma_f32_16x16x32_fp8_fp8 v[64:67], a[136:137], v[232:233], v[64:67]// 000000008B64: D3F30040 0D03D188
	buffer_load_dwordx4 a[4:7], v34, s[24:27], 0 offen offset:1024// 000000008B6C: E05C1400 80860422
	v_mfma_f32_16x16x32_fp8_fp8 v[64:67], a[138:139], v[234:235], v[64:67]// 000000008B74: D3F30040 0D03D58A
	v_mfma_f32_16x16x32_fp8_fp8 v[64:67], a[140:141], v[236:237], v[64:67]// 000000008B7C: D3F30040 0D03D98C
	v_mfma_f32_16x16x32_fp8_fp8 v[64:67], a[142:143], v[238:239], v[64:67]// 000000008B84: D3F30040 0D03DD8E
	v_mfma_f32_16x16x32_fp8_fp8 v[68:71], a[128:129], v[240:241], v[68:71]// 000000008B8C: D3F30044 0D13E180
	buffer_load_dwordx4 a[8:11], v34, s[24:27], 0 offen offset:2048// 000000008B94: E05C1800 80860822
	v_mfma_f32_16x16x32_fp8_fp8 v[68:71], a[130:131], v[242:243], v[68:71]// 000000008B9C: D3F30044 0D13E582
	v_mfma_f32_16x16x32_fp8_fp8 v[68:71], a[132:133], v[244:245], v[68:71]// 000000008BA4: D3F30044 0D13E984
	v_mfma_f32_16x16x32_fp8_fp8 v[68:71], a[134:135], v[246:247], v[68:71]// 000000008BAC: D3F30044 0D13ED86
	v_mfma_f32_16x16x32_fp8_fp8 v[68:71], a[136:137], v[248:249], v[68:71]// 000000008BB4: D3F30044 0D13F188
	buffer_load_dwordx4 a[12:15], v34, s[24:27], 0 offen offset:3072// 000000008BBC: E05C1C00 80860C22
	v_mfma_f32_16x16x32_fp8_fp8 v[68:71], a[138:139], v[250:251], v[68:71]// 000000008BC4: D3F30044 0D13F58A
	v_mfma_f32_16x16x32_fp8_fp8 v[68:71], a[140:141], v[252:253], v[68:71]// 000000008BCC: D3F30044 0D13F98C
	v_mfma_f32_16x16x32_fp8_fp8 v[68:71], a[142:143], v[254:255], v[68:71]// 000000008BD4: D3F30044 0D13FD8E
	v_mfma_f32_16x16x32_fp8_fp8 v[72:75], a[144:145], v[224:225], v[72:75]// 000000008BDC: D3F30048 0D23C190
	buffer_load_dwordx4 a[16:19], v35, s[24:27], 0 offen       // 000000008BE4: E05C1000 80861023
	v_mfma_f32_16x16x32_fp8_fp8 v[72:75], a[146:147], v[226:227], v[72:75]// 000000008BEC: D3F30048 0D23C592
	v_mfma_f32_16x16x32_fp8_fp8 v[72:75], a[148:149], v[228:229], v[72:75]// 000000008BF4: D3F30048 0D23C994
	v_mfma_f32_16x16x32_fp8_fp8 v[72:75], a[150:151], v[230:231], v[72:75]// 000000008BFC: D3F30048 0D23CD96
	v_mfma_f32_16x16x32_fp8_fp8 v[72:75], a[152:153], v[232:233], v[72:75]// 000000008C04: D3F30048 0D23D198
	buffer_load_dwordx4 a[20:23], v35, s[24:27], 0 offen offset:1024// 000000008C0C: E05C1400 80861423
	v_mfma_f32_16x16x32_fp8_fp8 v[72:75], a[154:155], v[234:235], v[72:75]// 000000008C14: D3F30048 0D23D59A
	v_mfma_f32_16x16x32_fp8_fp8 v[72:75], a[156:157], v[236:237], v[72:75]// 000000008C1C: D3F30048 0D23D99C
	v_mfma_f32_16x16x32_fp8_fp8 v[72:75], a[158:159], v[238:239], v[72:75]// 000000008C24: D3F30048 0D23DD9E
	v_mfma_f32_16x16x32_fp8_fp8 v[76:79], a[144:145], v[240:241], v[76:79]// 000000008C2C: D3F3004C 0D33E190
	buffer_load_dwordx4 a[24:27], v35, s[24:27], 0 offen offset:2048// 000000008C34: E05C1800 80861823
	v_mfma_f32_16x16x32_fp8_fp8 v[76:79], a[146:147], v[242:243], v[76:79]// 000000008C3C: D3F3004C 0D33E592
	v_mfma_f32_16x16x32_fp8_fp8 v[76:79], a[148:149], v[244:245], v[76:79]// 000000008C44: D3F3004C 0D33E994
	v_mfma_f32_16x16x32_fp8_fp8 v[76:79], a[150:151], v[246:247], v[76:79]// 000000008C4C: D3F3004C 0D33ED96
	v_mfma_f32_16x16x32_fp8_fp8 v[76:79], a[152:153], v[248:249], v[76:79]// 000000008C54: D3F3004C 0D33F198
	buffer_load_dwordx4 a[28:31], v35, s[24:27], 0 offen offset:3072// 000000008C5C: E05C1C00 80861C23
	v_mfma_f32_16x16x32_fp8_fp8 v[76:79], a[154:155], v[250:251], v[76:79]// 000000008C64: D3F3004C 0D33F59A
	v_mfma_f32_16x16x32_fp8_fp8 v[76:79], a[156:157], v[252:253], v[76:79]// 000000008C6C: D3F3004C 0D33F99C
	v_mfma_f32_16x16x32_fp8_fp8 v[76:79], a[158:159], v[254:255], v[76:79]// 000000008C74: D3F3004C 0D33FD9E
	s_waitcnt vmcnt(28)                                        // 000000008C7C: BF8C4F7C
	v_mfma_f32_16x16x32_fp8_fp8 v[80:83], a[160:161], v[224:225], v[80:83]// 000000008C80: D3F30050 0D43C1A0
	buffer_load_dwordx4 a[32:35], v36, s[24:27], 0 offen       // 000000008C88: E05C1000 80862024
	v_mfma_f32_16x16x32_fp8_fp8 v[80:83], a[162:163], v[226:227], v[80:83]// 000000008C90: D3F30050 0D43C5A2
	v_mfma_f32_16x16x32_fp8_fp8 v[80:83], a[164:165], v[228:229], v[80:83]// 000000008C98: D3F30050 0D43C9A4
	ds_read_b128 v[192:195], v2                                // 000000008CA0: D9FE0000 C0000002
	v_mfma_f32_16x16x32_fp8_fp8 v[80:83], a[166:167], v[230:231], v[80:83]// 000000008CA8: D3F30050 0D43CDA6
	v_mfma_f32_16x16x32_fp8_fp8 v[80:83], a[168:169], v[232:233], v[80:83]// 000000008CB0: D3F30050 0D43D1A8
	buffer_load_dwordx4 a[36:39], v36, s[24:27], 0 offen offset:1024// 000000008CB8: E05C1400 80862424
	v_mfma_f32_16x16x32_fp8_fp8 v[80:83], a[170:171], v[234:235], v[80:83]// 000000008CC0: D3F30050 0D43D5AA
	v_mfma_f32_16x16x32_fp8_fp8 v[80:83], a[172:173], v[236:237], v[80:83]// 000000008CC8: D3F30050 0D43D9AC
	ds_read_b128 v[196:199], v2 offset:64                      // 000000008CD0: D9FE0040 C4000002
	v_mfma_f32_16x16x32_fp8_fp8 v[80:83], a[174:175], v[238:239], v[80:83]// 000000008CD8: D3F30050 0D43DDAE
	v_mfma_f32_16x16x32_fp8_fp8 v[84:87], a[160:161], v[240:241], v[84:87]// 000000008CE0: D3F30054 0D53E1A0
	buffer_load_dwordx4 a[40:43], v36, s[24:27], 0 offen offset:2048// 000000008CE8: E05C1800 80862824
	v_mfma_f32_16x16x32_fp8_fp8 v[84:87], a[162:163], v[242:243], v[84:87]// 000000008CF0: D3F30054 0D53E5A2
	v_mfma_f32_16x16x32_fp8_fp8 v[84:87], a[164:165], v[244:245], v[84:87]// 000000008CF8: D3F30054 0D53E9A4
	ds_read_b128 v[200:203], v2 offset:128                     // 000000008D00: D9FE0080 C8000002
	v_mfma_f32_16x16x32_fp8_fp8 v[84:87], a[166:167], v[246:247], v[84:87]// 000000008D08: D3F30054 0D53EDA6
	v_mfma_f32_16x16x32_fp8_fp8 v[84:87], a[168:169], v[248:249], v[84:87]// 000000008D10: D3F30054 0D53F1A8
	buffer_load_dwordx4 a[44:47], v36, s[24:27], 0 offen offset:3072// 000000008D18: E05C1C00 80862C24
	v_mfma_f32_16x16x32_fp8_fp8 v[84:87], a[170:171], v[250:251], v[84:87]// 000000008D20: D3F30054 0D53F5AA
	v_mfma_f32_16x16x32_fp8_fp8 v[84:87], a[172:173], v[252:253], v[84:87]// 000000008D28: D3F30054 0D53F9AC
	ds_read_b128 v[204:207], v2 offset:192                     // 000000008D30: D9FE00C0 CC000002
	v_mfma_f32_16x16x32_fp8_fp8 v[84:87], a[174:175], v[254:255], v[84:87]// 000000008D38: D3F30054 0D53FDAE
	s_waitcnt vmcnt(28)                                        // 000000008D40: BF8C4F7C
	v_mfma_f32_16x16x32_fp8_fp8 v[88:91], a[176:177], v[224:225], v[88:91]// 000000008D44: D3F30058 0D63C1B0
	buffer_load_dwordx4 a[48:51], v37, s[24:27], 0 offen       // 000000008D4C: E05C1000 80863025
	v_mfma_f32_16x16x32_fp8_fp8 v[88:91], a[178:179], v[226:227], v[88:91]// 000000008D54: D3F30058 0D63C5B2
	v_mfma_f32_16x16x32_fp8_fp8 v[88:91], a[180:181], v[228:229], v[88:91]// 000000008D5C: D3F30058 0D63C9B4
	ds_read_b128 v[208:211], v2 offset:1024                    // 000000008D64: D9FE0400 D0000002
	v_mfma_f32_16x16x32_fp8_fp8 v[88:91], a[182:183], v[230:231], v[88:91]// 000000008D6C: D3F30058 0D63CDB6
	v_mfma_f32_16x16x32_fp8_fp8 v[88:91], a[184:185], v[232:233], v[88:91]// 000000008D74: D3F30058 0D63D1B8
	buffer_load_dwordx4 a[52:55], v37, s[24:27], 0 offen offset:1024// 000000008D7C: E05C1400 80863425
	v_mfma_f32_16x16x32_fp8_fp8 v[88:91], a[186:187], v[234:235], v[88:91]// 000000008D84: D3F30058 0D63D5BA
	v_mfma_f32_16x16x32_fp8_fp8 v[88:91], a[188:189], v[236:237], v[88:91]// 000000008D8C: D3F30058 0D63D9BC
	ds_read_b128 v[212:215], v2 offset:1088                    // 000000008D94: D9FE0440 D4000002
	v_mfma_f32_16x16x32_fp8_fp8 v[88:91], a[190:191], v[238:239], v[88:91]// 000000008D9C: D3F30058 0D63DDBE
	v_mfma_f32_16x16x32_fp8_fp8 v[92:95], a[176:177], v[240:241], v[92:95]// 000000008DA4: D3F3005C 0D73E1B0
	buffer_load_dwordx4 a[56:59], v37, s[24:27], 0 offen offset:2048// 000000008DAC: E05C1800 80863825
	v_mfma_f32_16x16x32_fp8_fp8 v[92:95], a[178:179], v[242:243], v[92:95]// 000000008DB4: D3F3005C 0D73E5B2
	v_mfma_f32_16x16x32_fp8_fp8 v[92:95], a[180:181], v[244:245], v[92:95]// 000000008DBC: D3F3005C 0D73E9B4
	ds_read_b128 v[216:219], v2 offset:1152                    // 000000008DC4: D9FE0480 D8000002
	v_mfma_f32_16x16x32_fp8_fp8 v[92:95], a[182:183], v[246:247], v[92:95]// 000000008DCC: D3F3005C 0D73EDB6
	v_mfma_f32_16x16x32_fp8_fp8 v[92:95], a[184:185], v[248:249], v[92:95]// 000000008DD4: D3F3005C 0D73F1B8
	buffer_load_dwordx4 a[60:63], v37, s[24:27], 0 offen offset:3072// 000000008DDC: E05C1C00 80863C25
	v_mfma_f32_16x16x32_fp8_fp8 v[92:95], a[186:187], v[250:251], v[92:95]// 000000008DE4: D3F3005C 0D73F5BA
	v_mfma_f32_16x16x32_fp8_fp8 v[92:95], a[188:189], v[252:253], v[92:95]// 000000008DEC: D3F3005C 0D73F9BC
	ds_read_b128 v[220:223], v2 offset:1216                    // 000000008DF4: D9FE04C0 DC000002
	v_mfma_f32_16x16x32_fp8_fp8 v[92:95], a[190:191], v[254:255], v[92:95]// 000000008DFC: D3F3005C 0D73FDBE
	s_waitcnt vmcnt(28)                                        // 000000008E04: BF8C4F7C
	v_mfma_f32_16x16x32_fp8_fp8 v[96:99], a[192:193], v[224:225], v[96:99]// 000000008E08: D3F30060 0D83C1C0
	buffer_load_dwordx4 a[64:67], v38, s[24:27], 0 offen       // 000000008E10: E05C1000 80864026
	v_mfma_f32_16x16x32_fp8_fp8 v[96:99], a[194:195], v[226:227], v[96:99]// 000000008E18: D3F30060 0D83C5C2
	v_mfma_f32_16x16x32_fp8_fp8 v[96:99], a[196:197], v[228:229], v[96:99]// 000000008E20: D3F30060 0D83C9C4
	v_mfma_f32_16x16x32_fp8_fp8 v[96:99], a[198:199], v[230:231], v[96:99]// 000000008E28: D3F30060 0D83CDC6
	v_mfma_f32_16x16x32_fp8_fp8 v[96:99], a[200:201], v[232:233], v[96:99]// 000000008E30: D3F30060 0D83D1C8
	buffer_load_dwordx4 a[68:71], v38, s[24:27], 0 offen offset:1024// 000000008E38: E05C1400 80864426
	v_mfma_f32_16x16x32_fp8_fp8 v[96:99], a[202:203], v[234:235], v[96:99]// 000000008E40: D3F30060 0D83D5CA
	v_mfma_f32_16x16x32_fp8_fp8 v[96:99], a[204:205], v[236:237], v[96:99]// 000000008E48: D3F30060 0D83D9CC
	v_mfma_f32_16x16x32_fp8_fp8 v[96:99], a[206:207], v[238:239], v[96:99]// 000000008E50: D3F30060 0D83DDCE
	v_mfma_f32_16x16x32_fp8_fp8 v[100:103], a[192:193], v[240:241], v[100:103]// 000000008E58: D3F30064 0D93E1C0
	buffer_load_dwordx4 a[72:75], v38, s[24:27], 0 offen offset:2048// 000000008E60: E05C1800 80864826
	v_mfma_f32_16x16x32_fp8_fp8 v[100:103], a[194:195], v[242:243], v[100:103]// 000000008E68: D3F30064 0D93E5C2
	v_mfma_f32_16x16x32_fp8_fp8 v[100:103], a[196:197], v[244:245], v[100:103]// 000000008E70: D3F30064 0D93E9C4
	v_mfma_f32_16x16x32_fp8_fp8 v[100:103], a[198:199], v[246:247], v[100:103]// 000000008E78: D3F30064 0D93EDC6
	v_mfma_f32_16x16x32_fp8_fp8 v[100:103], a[200:201], v[248:249], v[100:103]// 000000008E80: D3F30064 0D93F1C8
	buffer_load_dwordx4 a[76:79], v38, s[24:27], 0 offen offset:3072// 000000008E88: E05C1C00 80864C26
	v_mfma_f32_16x16x32_fp8_fp8 v[100:103], a[202:203], v[250:251], v[100:103]// 000000008E90: D3F30064 0D93F5CA
	v_mfma_f32_16x16x32_fp8_fp8 v[100:103], a[204:205], v[252:253], v[100:103]// 000000008E98: D3F30064 0D93F9CC
	v_mfma_f32_16x16x32_fp8_fp8 v[100:103], a[206:207], v[254:255], v[100:103]// 000000008EA0: D3F30064 0D93FDCE
	s_waitcnt vmcnt(28)                                        // 000000008EA8: BF8C4F7C
	v_mfma_f32_16x16x32_fp8_fp8 v[104:107], a[208:209], v[224:225], v[104:107]// 000000008EAC: D3F30068 0DA3C1D0
	buffer_load_dwordx4 a[80:83], v39, s[24:27], 0 offen       // 000000008EB4: E05C1000 80865027
	v_mfma_f32_16x16x32_fp8_fp8 v[104:107], a[210:211], v[226:227], v[104:107]// 000000008EBC: D3F30068 0DA3C5D2
	v_mfma_f32_16x16x32_fp8_fp8 v[104:107], a[212:213], v[228:229], v[104:107]// 000000008EC4: D3F30068 0DA3C9D4
	v_mfma_f32_16x16x32_fp8_fp8 v[104:107], a[214:215], v[230:231], v[104:107]// 000000008ECC: D3F30068 0DA3CDD6
	v_mfma_f32_16x16x32_fp8_fp8 v[104:107], a[216:217], v[232:233], v[104:107]// 000000008ED4: D3F30068 0DA3D1D8
	buffer_load_dwordx4 a[84:87], v39, s[24:27], 0 offen offset:1024// 000000008EDC: E05C1400 80865427
	v_mfma_f32_16x16x32_fp8_fp8 v[104:107], a[218:219], v[234:235], v[104:107]// 000000008EE4: D3F30068 0DA3D5DA
	v_mfma_f32_16x16x32_fp8_fp8 v[104:107], a[220:221], v[236:237], v[104:107]// 000000008EEC: D3F30068 0DA3D9DC
	v_mfma_f32_16x16x32_fp8_fp8 v[104:107], a[222:223], v[238:239], v[104:107]// 000000008EF4: D3F30068 0DA3DDDE
	v_mfma_f32_16x16x32_fp8_fp8 v[108:111], a[208:209], v[240:241], v[108:111]// 000000008EFC: D3F3006C 0DB3E1D0
	buffer_load_dwordx4 a[88:91], v39, s[24:27], 0 offen offset:2048// 000000008F04: E05C1800 80865827
	v_mfma_f32_16x16x32_fp8_fp8 v[108:111], a[210:211], v[242:243], v[108:111]// 000000008F0C: D3F3006C 0DB3E5D2
	v_mfma_f32_16x16x32_fp8_fp8 v[108:111], a[212:213], v[244:245], v[108:111]// 000000008F14: D3F3006C 0DB3E9D4
	v_mfma_f32_16x16x32_fp8_fp8 v[108:111], a[214:215], v[246:247], v[108:111]// 000000008F1C: D3F3006C 0DB3EDD6
	v_mfma_f32_16x16x32_fp8_fp8 v[108:111], a[216:217], v[248:249], v[108:111]// 000000008F24: D3F3006C 0DB3F1D8
	buffer_load_dwordx4 a[92:95], v39, s[24:27], 0 offen offset:3072// 000000008F2C: E05C1C00 80865C27
	v_mfma_f32_16x16x32_fp8_fp8 v[108:111], a[218:219], v[250:251], v[108:111]// 000000008F34: D3F3006C 0DB3F5DA
	v_mfma_f32_16x16x32_fp8_fp8 v[108:111], a[220:221], v[252:253], v[108:111]// 000000008F3C: D3F3006C 0DB3F9DC
	v_mfma_f32_16x16x32_fp8_fp8 v[108:111], a[222:223], v[254:255], v[108:111]// 000000008F44: D3F3006C 0DB3FDDE
	s_waitcnt vmcnt(28)                                        // 000000008F4C: BF8C4F7C
	v_mfma_f32_16x16x32_fp8_fp8 v[112:115], a[224:225], v[224:225], v[112:115]// 000000008F50: D3F30070 0DC3C1E0
	buffer_load_dwordx4 a[96:99], v40, s[24:27], 0 offen       // 000000008F58: E05C1000 80866028
	v_mfma_f32_16x16x32_fp8_fp8 v[112:115], a[226:227], v[226:227], v[112:115]// 000000008F60: D3F30070 0DC3C5E2
	v_mfma_f32_16x16x32_fp8_fp8 v[112:115], a[228:229], v[228:229], v[112:115]// 000000008F68: D3F30070 0DC3C9E4
	v_mfma_f32_16x16x32_fp8_fp8 v[112:115], a[230:231], v[230:231], v[112:115]// 000000008F70: D3F30070 0DC3CDE6
	v_mfma_f32_16x16x32_fp8_fp8 v[112:115], a[232:233], v[232:233], v[112:115]// 000000008F78: D3F30070 0DC3D1E8
	buffer_load_dwordx4 a[100:103], v40, s[24:27], 0 offen offset:1024// 000000008F80: E05C1400 80866428
	v_mfma_f32_16x16x32_fp8_fp8 v[112:115], a[234:235], v[234:235], v[112:115]// 000000008F88: D3F30070 0DC3D5EA
	v_mfma_f32_16x16x32_fp8_fp8 v[112:115], a[236:237], v[236:237], v[112:115]// 000000008F90: D3F30070 0DC3D9EC
	v_mfma_f32_16x16x32_fp8_fp8 v[112:115], a[238:239], v[238:239], v[112:115]// 000000008F98: D3F30070 0DC3DDEE
	v_mfma_f32_16x16x32_fp8_fp8 v[116:119], a[224:225], v[240:241], v[116:119]// 000000008FA0: D3F30074 0DD3E1E0
	buffer_load_dwordx4 a[104:107], v40, s[24:27], 0 offen offset:2048// 000000008FA8: E05C1800 80866828
	v_mfma_f32_16x16x32_fp8_fp8 v[116:119], a[226:227], v[242:243], v[116:119]// 000000008FB0: D3F30074 0DD3E5E2
	v_mfma_f32_16x16x32_fp8_fp8 v[116:119], a[228:229], v[244:245], v[116:119]// 000000008FB8: D3F30074 0DD3E9E4
	v_mfma_f32_16x16x32_fp8_fp8 v[116:119], a[230:231], v[246:247], v[116:119]// 000000008FC0: D3F30074 0DD3EDE6
	v_mfma_f32_16x16x32_fp8_fp8 v[116:119], a[232:233], v[248:249], v[116:119]// 000000008FC8: D3F30074 0DD3F1E8
	buffer_load_dwordx4 a[108:111], v40, s[24:27], 0 offen offset:3072// 000000008FD0: E05C1C00 80866C28
	v_mfma_f32_16x16x32_fp8_fp8 v[116:119], a[234:235], v[250:251], v[116:119]// 000000008FD8: D3F30074 0DD3F5EA
	v_mfma_f32_16x16x32_fp8_fp8 v[116:119], a[236:237], v[252:253], v[116:119]// 000000008FE0: D3F30074 0DD3F9EC
	v_mfma_f32_16x16x32_fp8_fp8 v[116:119], a[238:239], v[254:255], v[116:119]// 000000008FE8: D3F30074 0DD3FDEE
	s_waitcnt vmcnt(28)                                        // 000000008FF0: BF8C4F7C
	v_mfma_f32_16x16x32_fp8_fp8 v[120:123], a[240:241], v[224:225], v[120:123]// 000000008FF4: D3F30078 0DE3C1F0
	buffer_load_dwordx4 a[112:115], v41, s[24:27], 0 offen     // 000000008FFC: E05C1000 80867029
	v_mfma_f32_16x16x32_fp8_fp8 v[120:123], a[242:243], v[226:227], v[120:123]// 000000009004: D3F30078 0DE3C5F2
	v_mfma_f32_16x16x32_fp8_fp8 v[120:123], a[244:245], v[228:229], v[120:123]// 00000000900C: D3F30078 0DE3C9F4
	v_mfma_f32_16x16x32_fp8_fp8 v[120:123], a[246:247], v[230:231], v[120:123]// 000000009014: D3F30078 0DE3CDF6
	v_mfma_f32_16x16x32_fp8_fp8 v[120:123], a[248:249], v[232:233], v[120:123]// 00000000901C: D3F30078 0DE3D1F8
	buffer_load_dwordx4 a[116:119], v41, s[24:27], 0 offen offset:1024// 000000009024: E05C1400 80867429
	v_mfma_f32_16x16x32_fp8_fp8 v[120:123], a[250:251], v[234:235], v[120:123]// 00000000902C: D3F30078 0DE3D5FA
	v_mfma_f32_16x16x32_fp8_fp8 v[120:123], a[252:253], v[236:237], v[120:123]// 000000009034: D3F30078 0DE3D9FC
	v_mfma_f32_16x16x32_fp8_fp8 v[120:123], a[254:255], v[238:239], v[120:123]// 00000000903C: D3F30078 0DE3DDFE
	v_mfma_f32_16x16x32_fp8_fp8 v[124:127], a[240:241], v[240:241], v[124:127]// 000000009044: D3F3007C 0DF3E1F0
	buffer_load_dwordx4 a[120:123], v41, s[24:27], 0 offen offset:2048// 00000000904C: E05C1800 80867829
	v_mfma_f32_16x16x32_fp8_fp8 v[124:127], a[242:243], v[242:243], v[124:127]// 000000009054: D3F3007C 0DF3E5F2
	v_mfma_f32_16x16x32_fp8_fp8 v[124:127], a[244:245], v[244:245], v[124:127]// 00000000905C: D3F3007C 0DF3E9F4
	v_mfma_f32_16x16x32_fp8_fp8 v[124:127], a[246:247], v[246:247], v[124:127]// 000000009064: D3F3007C 0DF3EDF6
	v_mfma_f32_16x16x32_fp8_fp8 v[124:127], a[248:249], v[248:249], v[124:127]// 00000000906C: D3F3007C 0DF3F1F8
	buffer_load_dwordx4 a[124:127], v41, s[24:27], 0 offen offset:3072// 000000009074: E05C1C00 80867C29
	v_mfma_f32_16x16x32_fp8_fp8 v[124:127], a[250:251], v[250:251], v[124:127]// 00000000907C: D3F3007C 0DF3F5FA
	v_mfma_f32_16x16x32_fp8_fp8 v[124:127], a[252:253], v[252:253], v[124:127]// 000000009084: D3F3007C 0DF3F9FC
	v_mfma_f32_16x16x32_fp8_fp8 v[124:127], a[254:255], v[254:255], v[124:127]// 00000000908C: D3F3007C 0DF3FDFE
	s_add_u32 s60, 0x200, s80                                  // 000000009094: 803C50FF 00000200
	s_cmp_lt_u32 s60, s81                                      // 00000000909C: BF0A513C
	s_cselect_b32 s57, s57, 0                                  // 0000000090A0: 85398039
	s_add_u32 s60, 0x200, s80                                  // 0000000090A4: 803C50FF 00000200
	s_cmp_lt_u32 s60, s81                                      // 0000000090AC: BF0A513C
	s_cselect_b32 s58, s58, 0                                  // 0000000090B0: 853A803A
	s_add_u32 s20, s57, s20                                    // 0000000090B4: 80141439
	s_addc_u32 s21, 0, s21                                     // 0000000090B8: 82151580
	s_add_u32 s24, s58, s24                                    // 0000000090BC: 8018183A
	s_addc_u32 s25, 0, s25                                     // 0000000090C0: 82191980
	s_add_u32 s92, s90, s92                                    // 0000000090C4: 805C5C5A
	s_addc_u32 s93, 0, s93                                     // 0000000090C8: 825D5D80
	s_addk_i32 s80, 0x100                                      // 0000000090CC: B7500100
	s_cmp_lt_i32 s80, s81                                      // 0000000090D0: BF045150
	s_cbranch_scc0 label_18B7                                  // 0000000090D4: BF840001
	s_branch label_1316                                        // 0000000090D8: BF82FA5F

00000000000090dc <label_18B7>:
	s_mov_b32 s20, 0                                           // 0000000090DC: BE940080
	s_cmp_lt_u32 s89, s66                                      // 0000000090E0: BF0A4259
	s_cselect_b32 s60, 0, 1                                    // 0000000090E4: 853C8180
	s_lshl1_add_u32 s20, s20, s60                              // 0000000090E8: 97143C14
	s_cmp_lt_u32 s88, s66                                      // 0000000090EC: BF0A4258
	s_cselect_b32 s60, 0, 1                                    // 0000000090F0: 853C8180
	s_lshl1_add_u32 s20, s20, s60                              // 0000000090F4: 97143C14
	s_cmp_lt_u32 s87, s66                                      // 0000000090F8: BF0A4257
	s_cselect_b32 s60, 0, 1                                    // 0000000090FC: 853C8180
	s_lshl1_add_u32 s20, s20, s60                              // 000000009100: 97143C14
	s_cmp_lt_u32 s86, s66                                      // 000000009104: BF0A4256
	s_cselect_b32 s60, 0, 1                                    // 000000009108: 853C8180
	s_lshl1_add_u32 s20, s20, s60                              // 00000000910C: 97143C14
	s_cmp_lt_u32 s85, s66                                      // 000000009110: BF0A4255
	s_cselect_b32 s60, 0, 1                                    // 000000009114: 853C8180
	s_lshl1_add_u32 s20, s20, s60                              // 000000009118: 97143C14
	s_cmp_lt_u32 s84, s66                                      // 00000000911C: BF0A4254
	s_cselect_b32 s60, 0, 1                                    // 000000009120: 853C8180
	s_lshl1_add_u32 s20, s20, s60                              // 000000009124: 97143C14
	s_cmp_lt_u32 s83, s66                                      // 000000009128: BF0A4253
	s_cselect_b32 s60, 0, 1                                    // 00000000912C: 853C8180
	s_lshl1_add_u32 s20, s20, s60                              // 000000009130: 97143C14
	s_cmp_lt_u32 s82, s66                                      // 000000009134: BF0A4252
	s_cselect_b32 s60, 0, 1                                    // 000000009138: 853C8180
	s_lshl1_add_u32 s20, s20, s60                              // 00000000913C: 97143C14
	v_mul_f32_e32 v128, v14, v128                              // 000000009140: 0B01010E
	v_mul_f32_e32 v129, v14, v129                              // 000000009144: 0B03030E
	v_mul_f32_e32 v130, v14, v130                              // 000000009148: 0B05050E
	v_mul_f32_e32 v131, v14, v131                              // 00000000914C: 0B07070E
	v_mul_f32_dpp v128, v16, v128 row_newbcast:0 row_mask:0xf bank_mask:0xf// 000000009150: 0B0100FA FF015010
	v_mul_f32_dpp v129, v16, v129 row_newbcast:1 row_mask:0xf bank_mask:0xf// 000000009158: 0B0302FA FF015110
	v_mul_f32_dpp v130, v16, v130 row_newbcast:2 row_mask:0xf bank_mask:0xf// 000000009160: 0B0504FA FF015210
	v_mul_f32_dpp v131, v16, v131 row_newbcast:3 row_mask:0xf bank_mask:0xf// 000000009168: 0B0706FA FF015310
	v_mul_f32_e32 v132, v15, v132                              // 000000009170: 0B09090F
	v_mul_f32_e32 v133, v15, v133                              // 000000009174: 0B0B0B0F
	v_mul_f32_e32 v134, v15, v134                              // 000000009178: 0B0D0D0F
	v_mul_f32_e32 v135, v15, v135                              // 00000000917C: 0B0F0F0F
	v_mul_f32_dpp v132, v16, v132 row_newbcast:0 row_mask:0xf bank_mask:0xf// 000000009180: 0B0908FA FF015010
	v_mul_f32_dpp v133, v16, v133 row_newbcast:1 row_mask:0xf bank_mask:0xf// 000000009188: 0B0B0AFA FF015110
	v_mul_f32_dpp v134, v16, v134 row_newbcast:2 row_mask:0xf bank_mask:0xf// 000000009190: 0B0D0CFA FF015210
	v_mul_f32_dpp v135, v16, v135 row_newbcast:3 row_mask:0xf bank_mask:0xf// 000000009198: 0B0F0EFA FF015310
	v_mul_f32_e32 v136, v14, v136                              // 0000000091A0: 0B11110E
	v_mul_f32_e32 v137, v14, v137                              // 0000000091A4: 0B13130E
	v_mul_f32_e32 v138, v14, v138                              // 0000000091A8: 0B15150E
	v_mul_f32_e32 v139, v14, v139                              // 0000000091AC: 0B17170E
	v_mul_f32_dpp v136, v16, v136 row_newbcast:4 row_mask:0xf bank_mask:0xf// 0000000091B0: 0B1110FA FF015410
	v_mul_f32_dpp v137, v16, v137 row_newbcast:5 row_mask:0xf bank_mask:0xf// 0000000091B8: 0B1312FA FF015510
	v_mul_f32_dpp v138, v16, v138 row_newbcast:6 row_mask:0xf bank_mask:0xf// 0000000091C0: 0B1514FA FF015610
	v_mul_f32_dpp v139, v16, v139 row_newbcast:7 row_mask:0xf bank_mask:0xf// 0000000091C8: 0B1716FA FF015710
	v_mul_f32_e32 v140, v15, v140                              // 0000000091D0: 0B19190F
	v_mul_f32_e32 v141, v15, v141                              // 0000000091D4: 0B1B1B0F
	v_mul_f32_e32 v142, v15, v142                              // 0000000091D8: 0B1D1D0F
	v_mul_f32_e32 v143, v15, v143                              // 0000000091DC: 0B1F1F0F
	v_mul_f32_dpp v140, v16, v140 row_newbcast:4 row_mask:0xf bank_mask:0xf// 0000000091E0: 0B1918FA FF015410
	v_mul_f32_dpp v141, v16, v141 row_newbcast:5 row_mask:0xf bank_mask:0xf// 0000000091E8: 0B1B1AFA FF015510
	v_mul_f32_dpp v142, v16, v142 row_newbcast:6 row_mask:0xf bank_mask:0xf// 0000000091F0: 0B1D1CFA FF015610
	v_mul_f32_dpp v143, v16, v143 row_newbcast:7 row_mask:0xf bank_mask:0xf// 0000000091F8: 0B1F1EFA FF015710
	v_mul_f32_e32 v144, v14, v144                              // 000000009200: 0B21210E
	v_mul_f32_e32 v145, v14, v145                              // 000000009204: 0B23230E
	v_mul_f32_e32 v146, v14, v146                              // 000000009208: 0B25250E
	v_mul_f32_e32 v147, v14, v147                              // 00000000920C: 0B27270E
	v_mul_f32_dpp v144, v16, v144 row_newbcast:8 row_mask:0xf bank_mask:0xf// 000000009210: 0B2120FA FF015810
	v_mul_f32_dpp v145, v16, v145 row_newbcast:9 row_mask:0xf bank_mask:0xf// 000000009218: 0B2322FA FF015910
	v_mul_f32_dpp v146, v16, v146 row_newbcast:10 row_mask:0xf bank_mask:0xf// 000000009220: 0B2524FA FF015A10
	v_mul_f32_dpp v147, v16, v147 row_newbcast:11 row_mask:0xf bank_mask:0xf// 000000009228: 0B2726FA FF015B10
	v_mul_f32_e32 v148, v15, v148                              // 000000009230: 0B29290F
	v_mul_f32_e32 v149, v15, v149                              // 000000009234: 0B2B2B0F
	v_mul_f32_e32 v150, v15, v150                              // 000000009238: 0B2D2D0F
	v_mul_f32_e32 v151, v15, v151                              // 00000000923C: 0B2F2F0F
	v_mul_f32_dpp v148, v16, v148 row_newbcast:8 row_mask:0xf bank_mask:0xf// 000000009240: 0B2928FA FF015810
	v_mul_f32_dpp v149, v16, v149 row_newbcast:9 row_mask:0xf bank_mask:0xf// 000000009248: 0B2B2AFA FF015910
	v_mul_f32_dpp v150, v16, v150 row_newbcast:10 row_mask:0xf bank_mask:0xf// 000000009250: 0B2D2CFA FF015A10
	v_mul_f32_dpp v151, v16, v151 row_newbcast:11 row_mask:0xf bank_mask:0xf// 000000009258: 0B2F2EFA FF015B10
	v_mul_f32_e32 v152, v14, v152                              // 000000009260: 0B31310E
	v_mul_f32_e32 v153, v14, v153                              // 000000009264: 0B33330E
	v_mul_f32_e32 v154, v14, v154                              // 000000009268: 0B35350E
	v_mul_f32_e32 v155, v14, v155                              // 00000000926C: 0B37370E
	v_mul_f32_dpp v152, v16, v152 row_newbcast:12 row_mask:0xf bank_mask:0xf// 000000009270: 0B3130FA FF015C10
	v_mul_f32_dpp v153, v16, v153 row_newbcast:13 row_mask:0xf bank_mask:0xf// 000000009278: 0B3332FA FF015D10
	v_mul_f32_dpp v154, v16, v154 row_newbcast:14 row_mask:0xf bank_mask:0xf// 000000009280: 0B3534FA FF015E10
	v_mul_f32_dpp v155, v16, v155 row_newbcast:15 row_mask:0xf bank_mask:0xf// 000000009288: 0B3736FA FF015F10
	v_mul_f32_e32 v156, v15, v156                              // 000000009290: 0B39390F
	v_mul_f32_e32 v157, v15, v157                              // 000000009294: 0B3B3B0F
	v_mul_f32_e32 v158, v15, v158                              // 000000009298: 0B3D3D0F
	v_mul_f32_e32 v159, v15, v159                              // 00000000929C: 0B3F3F0F
	v_mul_f32_dpp v156, v16, v156 row_newbcast:12 row_mask:0xf bank_mask:0xf// 0000000092A0: 0B3938FA FF015C10
	v_mul_f32_dpp v157, v16, v157 row_newbcast:13 row_mask:0xf bank_mask:0xf// 0000000092A8: 0B3B3AFA FF015D10
	v_mul_f32_dpp v158, v16, v158 row_newbcast:14 row_mask:0xf bank_mask:0xf// 0000000092B0: 0B3D3CFA FF015E10
	v_mul_f32_dpp v159, v16, v159 row_newbcast:15 row_mask:0xf bank_mask:0xf// 0000000092B8: 0B3F3EFA FF015F10
	v_mul_f32_e32 v160, v14, v160                              // 0000000092C0: 0B41410E
	v_mul_f32_e32 v161, v14, v161                              // 0000000092C4: 0B43430E
	v_mul_f32_e32 v162, v14, v162                              // 0000000092C8: 0B45450E
	v_mul_f32_e32 v163, v14, v163                              // 0000000092CC: 0B47470E
	v_mul_f32_dpp v160, v17, v160 row_newbcast:0 row_mask:0xf bank_mask:0xf// 0000000092D0: 0B4140FA FF015011
	v_mul_f32_dpp v161, v17, v161 row_newbcast:1 row_mask:0xf bank_mask:0xf// 0000000092D8: 0B4342FA FF015111
	v_mul_f32_dpp v162, v17, v162 row_newbcast:2 row_mask:0xf bank_mask:0xf// 0000000092E0: 0B4544FA FF015211
	v_mul_f32_dpp v163, v17, v163 row_newbcast:3 row_mask:0xf bank_mask:0xf// 0000000092E8: 0B4746FA FF015311
	v_mul_f32_e32 v164, v15, v164                              // 0000000092F0: 0B49490F
	v_mul_f32_e32 v165, v15, v165                              // 0000000092F4: 0B4B4B0F
	v_mul_f32_e32 v166, v15, v166                              // 0000000092F8: 0B4D4D0F
	v_mul_f32_e32 v167, v15, v167                              // 0000000092FC: 0B4F4F0F
	v_mul_f32_dpp v164, v17, v164 row_newbcast:0 row_mask:0xf bank_mask:0xf// 000000009300: 0B4948FA FF015011
	v_mul_f32_dpp v165, v17, v165 row_newbcast:1 row_mask:0xf bank_mask:0xf// 000000009308: 0B4B4AFA FF015111
	v_mul_f32_dpp v166, v17, v166 row_newbcast:2 row_mask:0xf bank_mask:0xf// 000000009310: 0B4D4CFA FF015211
	v_mul_f32_dpp v167, v17, v167 row_newbcast:3 row_mask:0xf bank_mask:0xf// 000000009318: 0B4F4EFA FF015311
	v_mul_f32_e32 v168, v14, v168                              // 000000009320: 0B51510E
	v_mul_f32_e32 v169, v14, v169                              // 000000009324: 0B53530E
	v_mul_f32_e32 v170, v14, v170                              // 000000009328: 0B55550E
	v_mul_f32_e32 v171, v14, v171                              // 00000000932C: 0B57570E
	v_mul_f32_dpp v168, v17, v168 row_newbcast:4 row_mask:0xf bank_mask:0xf// 000000009330: 0B5150FA FF015411
	v_mul_f32_dpp v169, v17, v169 row_newbcast:5 row_mask:0xf bank_mask:0xf// 000000009338: 0B5352FA FF015511
	v_mul_f32_dpp v170, v17, v170 row_newbcast:6 row_mask:0xf bank_mask:0xf// 000000009340: 0B5554FA FF015611
	v_mul_f32_dpp v171, v17, v171 row_newbcast:7 row_mask:0xf bank_mask:0xf// 000000009348: 0B5756FA FF015711
	v_mul_f32_e32 v172, v15, v172                              // 000000009350: 0B59590F
	v_mul_f32_e32 v173, v15, v173                              // 000000009354: 0B5B5B0F
	v_mul_f32_e32 v174, v15, v174                              // 000000009358: 0B5D5D0F
	v_mul_f32_e32 v175, v15, v175                              // 00000000935C: 0B5F5F0F
	v_mul_f32_dpp v172, v17, v172 row_newbcast:4 row_mask:0xf bank_mask:0xf// 000000009360: 0B5958FA FF015411
	v_mul_f32_dpp v173, v17, v173 row_newbcast:5 row_mask:0xf bank_mask:0xf// 000000009368: 0B5B5AFA FF015511
	v_mul_f32_dpp v174, v17, v174 row_newbcast:6 row_mask:0xf bank_mask:0xf// 000000009370: 0B5D5CFA FF015611
	v_mul_f32_dpp v175, v17, v175 row_newbcast:7 row_mask:0xf bank_mask:0xf// 000000009378: 0B5F5EFA FF015711
	v_mul_f32_e32 v176, v14, v176                              // 000000009380: 0B61610E
	v_mul_f32_e32 v177, v14, v177                              // 000000009384: 0B63630E
	v_mul_f32_e32 v178, v14, v178                              // 000000009388: 0B65650E
	v_mul_f32_e32 v179, v14, v179                              // 00000000938C: 0B67670E
	v_mul_f32_dpp v176, v17, v176 row_newbcast:8 row_mask:0xf bank_mask:0xf// 000000009390: 0B6160FA FF015811
	v_mul_f32_dpp v177, v17, v177 row_newbcast:9 row_mask:0xf bank_mask:0xf// 000000009398: 0B6362FA FF015911
	v_mul_f32_dpp v178, v17, v178 row_newbcast:10 row_mask:0xf bank_mask:0xf// 0000000093A0: 0B6564FA FF015A11
	v_mul_f32_dpp v179, v17, v179 row_newbcast:11 row_mask:0xf bank_mask:0xf// 0000000093A8: 0B6766FA FF015B11
	v_mul_f32_e32 v180, v15, v180                              // 0000000093B0: 0B69690F
	v_mul_f32_e32 v181, v15, v181                              // 0000000093B4: 0B6B6B0F
	v_mul_f32_e32 v182, v15, v182                              // 0000000093B8: 0B6D6D0F
	v_mul_f32_e32 v183, v15, v183                              // 0000000093BC: 0B6F6F0F
	v_mul_f32_dpp v180, v17, v180 row_newbcast:8 row_mask:0xf bank_mask:0xf// 0000000093C0: 0B6968FA FF015811
	v_mul_f32_dpp v181, v17, v181 row_newbcast:9 row_mask:0xf bank_mask:0xf// 0000000093C8: 0B6B6AFA FF015911
	v_mul_f32_dpp v182, v17, v182 row_newbcast:10 row_mask:0xf bank_mask:0xf// 0000000093D0: 0B6D6CFA FF015A11
	v_mul_f32_dpp v183, v17, v183 row_newbcast:11 row_mask:0xf bank_mask:0xf// 0000000093D8: 0B6F6EFA FF015B11
	v_mul_f32_e32 v184, v14, v184                              // 0000000093E0: 0B71710E
	v_mul_f32_e32 v185, v14, v185                              // 0000000093E4: 0B73730E
	v_mul_f32_e32 v186, v14, v186                              // 0000000093E8: 0B75750E
	v_mul_f32_e32 v187, v14, v187                              // 0000000093EC: 0B77770E
	v_mul_f32_dpp v184, v17, v184 row_newbcast:12 row_mask:0xf bank_mask:0xf// 0000000093F0: 0B7170FA FF015C11
	v_mul_f32_dpp v185, v17, v185 row_newbcast:13 row_mask:0xf bank_mask:0xf// 0000000093F8: 0B7372FA FF015D11
	v_mul_f32_dpp v186, v17, v186 row_newbcast:14 row_mask:0xf bank_mask:0xf// 000000009400: 0B7574FA FF015E11
	v_mul_f32_dpp v187, v17, v187 row_newbcast:15 row_mask:0xf bank_mask:0xf// 000000009408: 0B7776FA FF015F11
	v_mul_f32_e32 v188, v15, v188                              // 000000009410: 0B79790F
	v_mul_f32_e32 v189, v15, v189                              // 000000009414: 0B7B7B0F
	v_mul_f32_e32 v190, v15, v190                              // 000000009418: 0B7D7D0F
	v_mul_f32_e32 v191, v15, v191                              // 00000000941C: 0B7F7F0F
	v_mul_f32_dpp v188, v17, v188 row_newbcast:12 row_mask:0xf bank_mask:0xf// 000000009420: 0B7978FA FF015C11
	v_mul_f32_dpp v189, v17, v189 row_newbcast:13 row_mask:0xf bank_mask:0xf// 000000009428: 0B7B7AFA FF015D11
	v_mul_f32_dpp v190, v17, v190 row_newbcast:14 row_mask:0xf bank_mask:0xf// 000000009430: 0B7D7CFA FF015E11
	v_mul_f32_dpp v191, v17, v191 row_newbcast:15 row_mask:0xf bank_mask:0xf// 000000009438: 0B7F7EFA FF015F11
	v_mul_f32_e32 v64, v14, v64                                // 000000009440: 0A80810E
	v_mul_f32_e32 v65, v14, v65                                // 000000009444: 0A82830E
	v_mul_f32_e32 v66, v14, v66                                // 000000009448: 0A84850E
	v_mul_f32_e32 v67, v14, v67                                // 00000000944C: 0A86870E
	v_mul_f32_dpp v64, v50, v64 row_newbcast:0 row_mask:0xf bank_mask:0xf// 000000009450: 0A8080FA FF015032
	v_mul_f32_dpp v65, v50, v65 row_newbcast:1 row_mask:0xf bank_mask:0xf// 000000009458: 0A8282FA FF015132
	v_mul_f32_dpp v66, v50, v66 row_newbcast:2 row_mask:0xf bank_mask:0xf// 000000009460: 0A8484FA FF015232
	v_mul_f32_dpp v67, v50, v67 row_newbcast:3 row_mask:0xf bank_mask:0xf// 000000009468: 0A8686FA FF015332
	v_mul_f32_e32 v68, v15, v68                                // 000000009470: 0A88890F
	v_mul_f32_e32 v69, v15, v69                                // 000000009474: 0A8A8B0F
	v_mul_f32_e32 v70, v15, v70                                // 000000009478: 0A8C8D0F
	v_mul_f32_e32 v71, v15, v71                                // 00000000947C: 0A8E8F0F
	v_mul_f32_dpp v68, v50, v68 row_newbcast:0 row_mask:0xf bank_mask:0xf// 000000009480: 0A8888FA FF015032
	v_mul_f32_dpp v69, v50, v69 row_newbcast:1 row_mask:0xf bank_mask:0xf// 000000009488: 0A8A8AFA FF015132
	v_mul_f32_dpp v70, v50, v70 row_newbcast:2 row_mask:0xf bank_mask:0xf// 000000009490: 0A8C8CFA FF015232
	v_mul_f32_dpp v71, v50, v71 row_newbcast:3 row_mask:0xf bank_mask:0xf// 000000009498: 0A8E8EFA FF015332
	v_mul_f32_e32 v72, v14, v72                                // 0000000094A0: 0A90910E
	v_mul_f32_e32 v73, v14, v73                                // 0000000094A4: 0A92930E
	v_mul_f32_e32 v74, v14, v74                                // 0000000094A8: 0A94950E
	v_mul_f32_e32 v75, v14, v75                                // 0000000094AC: 0A96970E
	v_mul_f32_dpp v72, v50, v72 row_newbcast:4 row_mask:0xf bank_mask:0xf// 0000000094B0: 0A9090FA FF015432
	v_mul_f32_dpp v73, v50, v73 row_newbcast:5 row_mask:0xf bank_mask:0xf// 0000000094B8: 0A9292FA FF015532
	v_mul_f32_dpp v74, v50, v74 row_newbcast:6 row_mask:0xf bank_mask:0xf// 0000000094C0: 0A9494FA FF015632
	v_mul_f32_dpp v75, v50, v75 row_newbcast:7 row_mask:0xf bank_mask:0xf// 0000000094C8: 0A9696FA FF015732
	v_mul_f32_e32 v76, v15, v76                                // 0000000094D0: 0A98990F
	v_mul_f32_e32 v77, v15, v77                                // 0000000094D4: 0A9A9B0F
	v_mul_f32_e32 v78, v15, v78                                // 0000000094D8: 0A9C9D0F
	v_mul_f32_e32 v79, v15, v79                                // 0000000094DC: 0A9E9F0F
	v_mul_f32_dpp v76, v50, v76 row_newbcast:4 row_mask:0xf bank_mask:0xf// 0000000094E0: 0A9898FA FF015432
	v_mul_f32_dpp v77, v50, v77 row_newbcast:5 row_mask:0xf bank_mask:0xf// 0000000094E8: 0A9A9AFA FF015532
	v_mul_f32_dpp v78, v50, v78 row_newbcast:6 row_mask:0xf bank_mask:0xf// 0000000094F0: 0A9C9CFA FF015632
	v_mul_f32_dpp v79, v50, v79 row_newbcast:7 row_mask:0xf bank_mask:0xf// 0000000094F8: 0A9E9EFA FF015732
	v_mul_f32_e32 v80, v14, v80                                // 000000009500: 0AA0A10E
	v_mul_f32_e32 v81, v14, v81                                // 000000009504: 0AA2A30E
	v_mul_f32_e32 v82, v14, v82                                // 000000009508: 0AA4A50E
	v_mul_f32_e32 v83, v14, v83                                // 00000000950C: 0AA6A70E
	v_mul_f32_dpp v80, v50, v80 row_newbcast:8 row_mask:0xf bank_mask:0xf// 000000009510: 0AA0A0FA FF015832
	v_mul_f32_dpp v81, v50, v81 row_newbcast:9 row_mask:0xf bank_mask:0xf// 000000009518: 0AA2A2FA FF015932
	v_mul_f32_dpp v82, v50, v82 row_newbcast:10 row_mask:0xf bank_mask:0xf// 000000009520: 0AA4A4FA FF015A32
	v_mul_f32_dpp v83, v50, v83 row_newbcast:11 row_mask:0xf bank_mask:0xf// 000000009528: 0AA6A6FA FF015B32
	v_mul_f32_e32 v84, v15, v84                                // 000000009530: 0AA8A90F
	v_mul_f32_e32 v85, v15, v85                                // 000000009534: 0AAAAB0F
	v_mul_f32_e32 v86, v15, v86                                // 000000009538: 0AACAD0F
	v_mul_f32_e32 v87, v15, v87                                // 00000000953C: 0AAEAF0F
	v_mul_f32_dpp v84, v50, v84 row_newbcast:8 row_mask:0xf bank_mask:0xf// 000000009540: 0AA8A8FA FF015832
	v_mul_f32_dpp v85, v50, v85 row_newbcast:9 row_mask:0xf bank_mask:0xf// 000000009548: 0AAAAAFA FF015932
	v_mul_f32_dpp v86, v50, v86 row_newbcast:10 row_mask:0xf bank_mask:0xf// 000000009550: 0AACACFA FF015A32
	v_mul_f32_dpp v87, v50, v87 row_newbcast:11 row_mask:0xf bank_mask:0xf// 000000009558: 0AAEAEFA FF015B32
	v_mul_f32_e32 v88, v14, v88                                // 000000009560: 0AB0B10E
	v_mul_f32_e32 v89, v14, v89                                // 000000009564: 0AB2B30E
	v_mul_f32_e32 v90, v14, v90                                // 000000009568: 0AB4B50E
	v_mul_f32_e32 v91, v14, v91                                // 00000000956C: 0AB6B70E
	v_mul_f32_dpp v88, v50, v88 row_newbcast:12 row_mask:0xf bank_mask:0xf// 000000009570: 0AB0B0FA FF015C32
	v_mul_f32_dpp v89, v50, v89 row_newbcast:13 row_mask:0xf bank_mask:0xf// 000000009578: 0AB2B2FA FF015D32
	v_mul_f32_dpp v90, v50, v90 row_newbcast:14 row_mask:0xf bank_mask:0xf// 000000009580: 0AB4B4FA FF015E32
	v_mul_f32_dpp v91, v50, v91 row_newbcast:15 row_mask:0xf bank_mask:0xf// 000000009588: 0AB6B6FA FF015F32
	v_mul_f32_e32 v92, v15, v92                                // 000000009590: 0AB8B90F
	v_mul_f32_e32 v93, v15, v93                                // 000000009594: 0ABABB0F
	v_mul_f32_e32 v94, v15, v94                                // 000000009598: 0ABCBD0F
	v_mul_f32_e32 v95, v15, v95                                // 00000000959C: 0ABEBF0F
	v_mul_f32_dpp v92, v50, v92 row_newbcast:12 row_mask:0xf bank_mask:0xf// 0000000095A0: 0AB8B8FA FF015C32
	v_mul_f32_dpp v93, v50, v93 row_newbcast:13 row_mask:0xf bank_mask:0xf// 0000000095A8: 0ABABAFA FF015D32
	v_mul_f32_dpp v94, v50, v94 row_newbcast:14 row_mask:0xf bank_mask:0xf// 0000000095B0: 0ABCBCFA FF015E32
	v_mul_f32_dpp v95, v50, v95 row_newbcast:15 row_mask:0xf bank_mask:0xf// 0000000095B8: 0ABEBEFA FF015F32
	v_mul_f32_e32 v96, v14, v96                                // 0000000095C0: 0AC0C10E
	v_mul_f32_e32 v97, v14, v97                                // 0000000095C4: 0AC2C30E
	v_mul_f32_e32 v98, v14, v98                                // 0000000095C8: 0AC4C50E
	v_mul_f32_e32 v99, v14, v99                                // 0000000095CC: 0AC6C70E
	v_mul_f32_dpp v96, v51, v96 row_newbcast:0 row_mask:0xf bank_mask:0xf// 0000000095D0: 0AC0C0FA FF015033
	v_mul_f32_dpp v97, v51, v97 row_newbcast:1 row_mask:0xf bank_mask:0xf// 0000000095D8: 0AC2C2FA FF015133
	v_mul_f32_dpp v98, v51, v98 row_newbcast:2 row_mask:0xf bank_mask:0xf// 0000000095E0: 0AC4C4FA FF015233
	v_mul_f32_dpp v99, v51, v99 row_newbcast:3 row_mask:0xf bank_mask:0xf// 0000000095E8: 0AC6C6FA FF015333
	v_mul_f32_e32 v100, v15, v100                              // 0000000095F0: 0AC8C90F
	v_mul_f32_e32 v101, v15, v101                              // 0000000095F4: 0ACACB0F
	v_mul_f32_e32 v102, v15, v102                              // 0000000095F8: 0ACCCD0F
	v_mul_f32_e32 v103, v15, v103                              // 0000000095FC: 0ACECF0F
	v_mul_f32_dpp v100, v51, v100 row_newbcast:0 row_mask:0xf bank_mask:0xf// 000000009600: 0AC8C8FA FF015033
	v_mul_f32_dpp v101, v51, v101 row_newbcast:1 row_mask:0xf bank_mask:0xf// 000000009608: 0ACACAFA FF015133
	v_mul_f32_dpp v102, v51, v102 row_newbcast:2 row_mask:0xf bank_mask:0xf// 000000009610: 0ACCCCFA FF015233
	v_mul_f32_dpp v103, v51, v103 row_newbcast:3 row_mask:0xf bank_mask:0xf// 000000009618: 0ACECEFA FF015333
	v_mul_f32_e32 v104, v14, v104                              // 000000009620: 0AD0D10E
	v_mul_f32_e32 v105, v14, v105                              // 000000009624: 0AD2D30E
	v_mul_f32_e32 v106, v14, v106                              // 000000009628: 0AD4D50E
	v_mul_f32_e32 v107, v14, v107                              // 00000000962C: 0AD6D70E
	v_mul_f32_dpp v104, v51, v104 row_newbcast:4 row_mask:0xf bank_mask:0xf// 000000009630: 0AD0D0FA FF015433
	v_mul_f32_dpp v105, v51, v105 row_newbcast:5 row_mask:0xf bank_mask:0xf// 000000009638: 0AD2D2FA FF015533
	v_mul_f32_dpp v106, v51, v106 row_newbcast:6 row_mask:0xf bank_mask:0xf// 000000009640: 0AD4D4FA FF015633
	v_mul_f32_dpp v107, v51, v107 row_newbcast:7 row_mask:0xf bank_mask:0xf// 000000009648: 0AD6D6FA FF015733
	v_mul_f32_e32 v108, v15, v108                              // 000000009650: 0AD8D90F
	v_mul_f32_e32 v109, v15, v109                              // 000000009654: 0ADADB0F
	v_mul_f32_e32 v110, v15, v110                              // 000000009658: 0ADCDD0F
	v_mul_f32_e32 v111, v15, v111                              // 00000000965C: 0ADEDF0F
	v_mul_f32_dpp v108, v51, v108 row_newbcast:4 row_mask:0xf bank_mask:0xf// 000000009660: 0AD8D8FA FF015433
	v_mul_f32_dpp v109, v51, v109 row_newbcast:5 row_mask:0xf bank_mask:0xf// 000000009668: 0ADADAFA FF015533
	v_mul_f32_dpp v110, v51, v110 row_newbcast:6 row_mask:0xf bank_mask:0xf// 000000009670: 0ADCDCFA FF015633
	v_mul_f32_dpp v111, v51, v111 row_newbcast:7 row_mask:0xf bank_mask:0xf// 000000009678: 0ADEDEFA FF015733
	v_mul_f32_e32 v112, v14, v112                              // 000000009680: 0AE0E10E
	v_mul_f32_e32 v113, v14, v113                              // 000000009684: 0AE2E30E
	v_mul_f32_e32 v114, v14, v114                              // 000000009688: 0AE4E50E
	v_mul_f32_e32 v115, v14, v115                              // 00000000968C: 0AE6E70E
	v_mul_f32_dpp v112, v51, v112 row_newbcast:8 row_mask:0xf bank_mask:0xf// 000000009690: 0AE0E0FA FF015833
	v_mul_f32_dpp v113, v51, v113 row_newbcast:9 row_mask:0xf bank_mask:0xf// 000000009698: 0AE2E2FA FF015933
	v_mul_f32_dpp v114, v51, v114 row_newbcast:10 row_mask:0xf bank_mask:0xf// 0000000096A0: 0AE4E4FA FF015A33
	v_mul_f32_dpp v115, v51, v115 row_newbcast:11 row_mask:0xf bank_mask:0xf// 0000000096A8: 0AE6E6FA FF015B33
	v_mul_f32_e32 v116, v15, v116                              // 0000000096B0: 0AE8E90F
	v_mul_f32_e32 v117, v15, v117                              // 0000000096B4: 0AEAEB0F
	v_mul_f32_e32 v118, v15, v118                              // 0000000096B8: 0AECED0F
	v_mul_f32_e32 v119, v15, v119                              // 0000000096BC: 0AEEEF0F
	v_mul_f32_dpp v116, v51, v116 row_newbcast:8 row_mask:0xf bank_mask:0xf// 0000000096C0: 0AE8E8FA FF015833
	v_mul_f32_dpp v117, v51, v117 row_newbcast:9 row_mask:0xf bank_mask:0xf// 0000000096C8: 0AEAEAFA FF015933
	v_mul_f32_dpp v118, v51, v118 row_newbcast:10 row_mask:0xf bank_mask:0xf// 0000000096D0: 0AECECFA FF015A33
	v_mul_f32_dpp v119, v51, v119 row_newbcast:11 row_mask:0xf bank_mask:0xf// 0000000096D8: 0AEEEEFA FF015B33
	v_mul_f32_e32 v120, v14, v120                              // 0000000096E0: 0AF0F10E
	v_mul_f32_e32 v121, v14, v121                              // 0000000096E4: 0AF2F30E
	v_mul_f32_e32 v122, v14, v122                              // 0000000096E8: 0AF4F50E
	v_mul_f32_e32 v123, v14, v123                              // 0000000096EC: 0AF6F70E
	v_mul_f32_dpp v120, v51, v120 row_newbcast:12 row_mask:0xf bank_mask:0xf// 0000000096F0: 0AF0F0FA FF015C33
	v_mul_f32_dpp v121, v51, v121 row_newbcast:13 row_mask:0xf bank_mask:0xf// 0000000096F8: 0AF2F2FA FF015D33
	v_mul_f32_dpp v122, v51, v122 row_newbcast:14 row_mask:0xf bank_mask:0xf// 000000009700: 0AF4F4FA FF015E33
	v_mul_f32_dpp v123, v51, v123 row_newbcast:15 row_mask:0xf bank_mask:0xf// 000000009708: 0AF6F6FA FF015F33
	v_mul_f32_e32 v124, v15, v124                              // 000000009710: 0AF8F90F
	v_mul_f32_e32 v125, v15, v125                              // 000000009714: 0AFAFB0F
	v_mul_f32_e32 v126, v15, v126                              // 000000009718: 0AFCFD0F
	v_mul_f32_e32 v127, v15, v127                              // 00000000971C: 0AFEFF0F
	v_mul_f32_dpp v124, v51, v124 row_newbcast:12 row_mask:0xf bank_mask:0xf// 000000009720: 0AF8F8FA FF015C33
	v_mul_f32_dpp v125, v51, v125 row_newbcast:13 row_mask:0xf bank_mask:0xf// 000000009728: 0AFAFAFA FF015D33
	v_mul_f32_dpp v126, v51, v126 row_newbcast:14 row_mask:0xf bank_mask:0xf// 000000009730: 0AFCFCFA FF015E33
	v_mul_f32_dpp v127, v51, v127 row_newbcast:15 row_mask:0xf bank_mask:0xf// 000000009738: 0AFEFEFA FF015F33
	s_waitcnt vmcnt(28)                                        // 000000009740: BF8C4F7C
	buffer_load_dwordx4 a[0:3], v42, s[12:15], 0 offen         // 000000009744: E05C1000 8083002A
	v_mul_f32_e64 v52, -v128, s6                               // 00000000974C: D1050034 20000D80
	v_mul_f32_e64 v53, -v129, s6                               // 000000009754: D1050035 20000D81
	v_mul_f32_e64 v54, -v130, s6                               // 00000000975C: D1050036 20000D82
	v_mul_f32_e64 v55, -v131, s6                               // 000000009764: D1050037 20000D83
	v_exp_f32_e32 v52, v52                                     // 00000000976C: 7E684134
	v_exp_f32_e32 v53, v53                                     // 000000009770: 7E6A4135
	v_exp_f32_e32 v54, v54                                     // 000000009774: 7E6C4136
	v_exp_f32_e32 v55, v55                                     // 000000009778: 7E6E4137
	buffer_load_dwordx4 a[4:7], v43, s[12:15], 0 offen         // 00000000977C: E05C1000 8083042B
	v_add_f32_e64 v52, v52, 1.0                                // 000000009784: D1010034 0001E534
	v_add_f32_e64 v53, v53, 1.0                                // 00000000978C: D1010035 0001E535
	v_add_f32_e64 v54, v54, 1.0                                // 000000009794: D1010036 0001E536
	v_add_f32_e64 v55, v55, 1.0                                // 00000000979C: D1010037 0001E537
	v_rcp_f32_e32 v52, v52                                     // 0000000097A4: 7E684534
	v_rcp_f32_e32 v53, v53                                     // 0000000097A8: 7E6A4535
	v_rcp_f32_e32 v54, v54                                     // 0000000097AC: 7E6C4536
	v_rcp_f32_e32 v55, v55                                     // 0000000097B0: 7E6E4537
	v_mul_f32_e32 v128, v128, v52                              // 0000000097B4: 0B006980
	v_mul_f32_e32 v129, v129, v53                              // 0000000097B8: 0B026B81
	v_mul_f32_e32 v130, v130, v54                              // 0000000097BC: 0B046D82
	v_mul_f32_e32 v131, v131, v55                              // 0000000097C0: 0B066F83
	v_mul_f32_e32 v128, v128, v64                              // 0000000097C4: 0B008180
	v_mul_f32_e32 v129, v129, v65                              // 0000000097C8: 0B028381
	v_mul_f32_e32 v130, v130, v66                              // 0000000097CC: 0B048582
	v_mul_f32_e32 v131, v131, v67                              // 0000000097D0: 0B068783
	buffer_load_dwordx4 a[8:11], v44, s[12:15], 0 offen        // 0000000097D4: E05C1000 8083082C
	v_mul_f32_e64 v52, -v132, s6                               // 0000000097DC: D1050034 20000D84
	v_mul_f32_e64 v53, -v133, s6                               // 0000000097E4: D1050035 20000D85
	v_mul_f32_e64 v54, -v134, s6                               // 0000000097EC: D1050036 20000D86
	v_mul_f32_e64 v55, -v135, s6                               // 0000000097F4: D1050037 20000D87
	v_exp_f32_e32 v52, v52                                     // 0000000097FC: 7E684134
	v_exp_f32_e32 v53, v53                                     // 000000009800: 7E6A4135
	v_exp_f32_e32 v54, v54                                     // 000000009804: 7E6C4136
	v_exp_f32_e32 v55, v55                                     // 000000009808: 7E6E4137
	buffer_load_dwordx4 a[12:15], v45, s[12:15], 0 offen       // 00000000980C: E05C1000 80830C2D
	s_add_u32 s12, s78, s12                                    // 000000009814: 800C0C4E
	s_addc_u32 s13, 0, s13                                     // 000000009818: 820D0D80
	v_add_f32_e64 v52, v52, 1.0                                // 00000000981C: D1010034 0001E534
	v_add_f32_e64 v53, v53, 1.0                                // 000000009824: D1010035 0001E535
	v_add_f32_e64 v54, v54, 1.0                                // 00000000982C: D1010036 0001E536
	v_add_f32_e64 v55, v55, 1.0                                // 000000009834: D1010037 0001E537
	v_rcp_f32_e32 v52, v52                                     // 00000000983C: 7E684534
	v_rcp_f32_e32 v53, v53                                     // 000000009840: 7E6A4535
	v_rcp_f32_e32 v54, v54                                     // 000000009844: 7E6C4536
	v_rcp_f32_e32 v55, v55                                     // 000000009848: 7E6E4537
	v_mul_f32_e32 v132, v132, v52                              // 00000000984C: 0B086984
	v_mul_f32_e32 v133, v133, v53                              // 000000009850: 0B0A6B85
	v_mul_f32_e32 v134, v134, v54                              // 000000009854: 0B0C6D86
	v_mul_f32_e32 v135, v135, v55                              // 000000009858: 0B0E6F87
	v_mul_f32_e32 v132, v132, v68                              // 00000000985C: 0B088984
	v_mul_f32_e32 v133, v133, v69                              // 000000009860: 0B0A8B85
	v_mul_f32_e32 v134, v134, v70                              // 000000009864: 0B0C8D86
	v_mul_f32_e32 v135, v135, v71                              // 000000009868: 0B0E8F87
	s_waitcnt vmcnt(28)                                        // 00000000986C: BF8C4F7C
	buffer_load_dwordx4 a[16:19], v42, s[12:15], 0 offen       // 000000009870: E05C1000 8083102A
	v_mul_f32_e64 v52, -v136, s6                               // 000000009878: D1050034 20000D88
	v_mul_f32_e64 v53, -v137, s6                               // 000000009880: D1050035 20000D89
	v_mul_f32_e64 v54, -v138, s6                               // 000000009888: D1050036 20000D8A
	v_mul_f32_e64 v55, -v139, s6                               // 000000009890: D1050037 20000D8B
	v_exp_f32_e32 v52, v52                                     // 000000009898: 7E684134
	v_exp_f32_e32 v53, v53                                     // 00000000989C: 7E6A4135
	v_exp_f32_e32 v54, v54                                     // 0000000098A0: 7E6C4136
	v_exp_f32_e32 v55, v55                                     // 0000000098A4: 7E6E4137
	buffer_load_dwordx4 a[20:23], v43, s[12:15], 0 offen       // 0000000098A8: E05C1000 8083142B
	v_add_f32_e64 v52, v52, 1.0                                // 0000000098B0: D1010034 0001E534
	v_add_f32_e64 v53, v53, 1.0                                // 0000000098B8: D1010035 0001E535
	v_add_f32_e64 v54, v54, 1.0                                // 0000000098C0: D1010036 0001E536
	v_add_f32_e64 v55, v55, 1.0                                // 0000000098C8: D1010037 0001E537
	v_rcp_f32_e32 v52, v52                                     // 0000000098D0: 7E684534
	v_rcp_f32_e32 v53, v53                                     // 0000000098D4: 7E6A4535
	v_rcp_f32_e32 v54, v54                                     // 0000000098D8: 7E6C4536
	v_rcp_f32_e32 v55, v55                                     // 0000000098DC: 7E6E4537
	v_mul_f32_e32 v136, v136, v52                              // 0000000098E0: 0B106988
	v_mul_f32_e32 v137, v137, v53                              // 0000000098E4: 0B126B89
	v_mul_f32_e32 v138, v138, v54                              // 0000000098E8: 0B146D8A
	v_mul_f32_e32 v139, v139, v55                              // 0000000098EC: 0B166F8B
	v_mul_f32_e32 v136, v136, v72                              // 0000000098F0: 0B109188
	v_mul_f32_e32 v137, v137, v73                              // 0000000098F4: 0B129389
	v_mul_f32_e32 v138, v138, v74                              // 0000000098F8: 0B14958A
	v_mul_f32_e32 v139, v139, v75                              // 0000000098FC: 0B16978B
	buffer_load_dwordx4 a[24:27], v44, s[12:15], 0 offen       // 000000009900: E05C1000 8083182C
	v_mul_f32_e64 v52, -v140, s6                               // 000000009908: D1050034 20000D8C
	v_mul_f32_e64 v53, -v141, s6                               // 000000009910: D1050035 20000D8D
	v_mul_f32_e64 v54, -v142, s6                               // 000000009918: D1050036 20000D8E
	v_mul_f32_e64 v55, -v143, s6                               // 000000009920: D1050037 20000D8F
	v_exp_f32_e32 v52, v52                                     // 000000009928: 7E684134
	v_exp_f32_e32 v53, v53                                     // 00000000992C: 7E6A4135
	v_exp_f32_e32 v54, v54                                     // 000000009930: 7E6C4136
	v_exp_f32_e32 v55, v55                                     // 000000009934: 7E6E4137
	buffer_load_dwordx4 a[28:31], v45, s[12:15], 0 offen       // 000000009938: E05C1000 80831C2D
	s_add_u32 s12, s78, s12                                    // 000000009940: 800C0C4E
	s_addc_u32 s13, 0, s13                                     // 000000009944: 820D0D80
	v_add_f32_e64 v52, v52, 1.0                                // 000000009948: D1010034 0001E534
	v_add_f32_e64 v53, v53, 1.0                                // 000000009950: D1010035 0001E535
	v_add_f32_e64 v54, v54, 1.0                                // 000000009958: D1010036 0001E536
	v_add_f32_e64 v55, v55, 1.0                                // 000000009960: D1010037 0001E537
	v_rcp_f32_e32 v52, v52                                     // 000000009968: 7E684534
	v_rcp_f32_e32 v53, v53                                     // 00000000996C: 7E6A4535
	v_rcp_f32_e32 v54, v54                                     // 000000009970: 7E6C4536
	v_rcp_f32_e32 v55, v55                                     // 000000009974: 7E6E4537
	v_mul_f32_e32 v140, v140, v52                              // 000000009978: 0B18698C
	v_mul_f32_e32 v141, v141, v53                              // 00000000997C: 0B1A6B8D
	v_mul_f32_e32 v142, v142, v54                              // 000000009980: 0B1C6D8E
	v_mul_f32_e32 v143, v143, v55                              // 000000009984: 0B1E6F8F
	v_mul_f32_e32 v140, v140, v76                              // 000000009988: 0B18998C
	v_mul_f32_e32 v141, v141, v77                              // 00000000998C: 0B1A9B8D
	v_mul_f32_e32 v142, v142, v78                              // 000000009990: 0B1C9D8E
	v_mul_f32_e32 v143, v143, v79                              // 000000009994: 0B1E9F8F
	s_waitcnt vmcnt(28)                                        // 000000009998: BF8C4F7C
	buffer_load_dwordx4 a[32:35], v42, s[12:15], 0 offen       // 00000000999C: E05C1000 8083202A
	v_mul_f32_e64 v52, -v144, s6                               // 0000000099A4: D1050034 20000D90
	v_mul_f32_e64 v53, -v145, s6                               // 0000000099AC: D1050035 20000D91
	v_mul_f32_e64 v54, -v146, s6                               // 0000000099B4: D1050036 20000D92
	v_mul_f32_e64 v55, -v147, s6                               // 0000000099BC: D1050037 20000D93
	v_exp_f32_e32 v52, v52                                     // 0000000099C4: 7E684134
	v_exp_f32_e32 v53, v53                                     // 0000000099C8: 7E6A4135
	v_exp_f32_e32 v54, v54                                     // 0000000099CC: 7E6C4136
	v_exp_f32_e32 v55, v55                                     // 0000000099D0: 7E6E4137
	buffer_load_dwordx4 a[36:39], v43, s[12:15], 0 offen       // 0000000099D4: E05C1000 8083242B
	v_add_f32_e64 v52, v52, 1.0                                // 0000000099DC: D1010034 0001E534
	v_add_f32_e64 v53, v53, 1.0                                // 0000000099E4: D1010035 0001E535
	v_add_f32_e64 v54, v54, 1.0                                // 0000000099EC: D1010036 0001E536
	v_add_f32_e64 v55, v55, 1.0                                // 0000000099F4: D1010037 0001E537
	v_rcp_f32_e32 v52, v52                                     // 0000000099FC: 7E684534
	v_rcp_f32_e32 v53, v53                                     // 000000009A00: 7E6A4535
	v_rcp_f32_e32 v54, v54                                     // 000000009A04: 7E6C4536
	v_rcp_f32_e32 v55, v55                                     // 000000009A08: 7E6E4537
	v_mul_f32_e32 v144, v144, v52                              // 000000009A0C: 0B206990
	v_mul_f32_e32 v145, v145, v53                              // 000000009A10: 0B226B91
	v_mul_f32_e32 v146, v146, v54                              // 000000009A14: 0B246D92
	v_mul_f32_e32 v147, v147, v55                              // 000000009A18: 0B266F93
	v_mul_f32_e32 v144, v144, v80                              // 000000009A1C: 0B20A190
	v_mul_f32_e32 v145, v145, v81                              // 000000009A20: 0B22A391
	v_mul_f32_e32 v146, v146, v82                              // 000000009A24: 0B24A592
	v_mul_f32_e32 v147, v147, v83                              // 000000009A28: 0B26A793
	buffer_load_dwordx4 a[40:43], v44, s[12:15], 0 offen       // 000000009A2C: E05C1000 8083282C
	v_mul_f32_e64 v52, -v148, s6                               // 000000009A34: D1050034 20000D94
	v_mul_f32_e64 v53, -v149, s6                               // 000000009A3C: D1050035 20000D95
	v_mul_f32_e64 v54, -v150, s6                               // 000000009A44: D1050036 20000D96
	v_mul_f32_e64 v55, -v151, s6                               // 000000009A4C: D1050037 20000D97
	v_exp_f32_e32 v52, v52                                     // 000000009A54: 7E684134
	v_exp_f32_e32 v53, v53                                     // 000000009A58: 7E6A4135
	v_exp_f32_e32 v54, v54                                     // 000000009A5C: 7E6C4136
	v_exp_f32_e32 v55, v55                                     // 000000009A60: 7E6E4137
	buffer_load_dwordx4 a[44:47], v45, s[12:15], 0 offen       // 000000009A64: E05C1000 80832C2D
	s_add_u32 s12, s78, s12                                    // 000000009A6C: 800C0C4E
	s_addc_u32 s13, 0, s13                                     // 000000009A70: 820D0D80
	v_add_f32_e64 v52, v52, 1.0                                // 000000009A74: D1010034 0001E534
	v_add_f32_e64 v53, v53, 1.0                                // 000000009A7C: D1010035 0001E535
	v_add_f32_e64 v54, v54, 1.0                                // 000000009A84: D1010036 0001E536
	v_add_f32_e64 v55, v55, 1.0                                // 000000009A8C: D1010037 0001E537
	v_rcp_f32_e32 v52, v52                                     // 000000009A94: 7E684534
	v_rcp_f32_e32 v53, v53                                     // 000000009A98: 7E6A4535
	v_rcp_f32_e32 v54, v54                                     // 000000009A9C: 7E6C4536
	v_rcp_f32_e32 v55, v55                                     // 000000009AA0: 7E6E4537
	v_mul_f32_e32 v148, v148, v52                              // 000000009AA4: 0B286994
	v_mul_f32_e32 v149, v149, v53                              // 000000009AA8: 0B2A6B95
	v_mul_f32_e32 v150, v150, v54                              // 000000009AAC: 0B2C6D96
	v_mul_f32_e32 v151, v151, v55                              // 000000009AB0: 0B2E6F97
	v_mul_f32_e32 v148, v148, v84                              // 000000009AB4: 0B28A994
	v_mul_f32_e32 v149, v149, v85                              // 000000009AB8: 0B2AAB95
	v_mul_f32_e32 v150, v150, v86                              // 000000009ABC: 0B2CAD96
	v_mul_f32_e32 v151, v151, v87                              // 000000009AC0: 0B2EAF97
	s_waitcnt vmcnt(28)                                        // 000000009AC4: BF8C4F7C
	buffer_load_dwordx4 a[48:51], v42, s[12:15], 0 offen       // 000000009AC8: E05C1000 8083302A
	v_mul_f32_e64 v52, -v152, s6                               // 000000009AD0: D1050034 20000D98
	v_mul_f32_e64 v53, -v153, s6                               // 000000009AD8: D1050035 20000D99
	v_mul_f32_e64 v54, -v154, s6                               // 000000009AE0: D1050036 20000D9A
	v_mul_f32_e64 v55, -v155, s6                               // 000000009AE8: D1050037 20000D9B
	v_exp_f32_e32 v52, v52                                     // 000000009AF0: 7E684134
	v_exp_f32_e32 v53, v53                                     // 000000009AF4: 7E6A4135
	v_exp_f32_e32 v54, v54                                     // 000000009AF8: 7E6C4136
	v_exp_f32_e32 v55, v55                                     // 000000009AFC: 7E6E4137
	buffer_load_dwordx4 a[52:55], v43, s[12:15], 0 offen       // 000000009B00: E05C1000 8083342B
	v_add_f32_e64 v52, v52, 1.0                                // 000000009B08: D1010034 0001E534
	v_add_f32_e64 v53, v53, 1.0                                // 000000009B10: D1010035 0001E535
	v_add_f32_e64 v54, v54, 1.0                                // 000000009B18: D1010036 0001E536
	v_add_f32_e64 v55, v55, 1.0                                // 000000009B20: D1010037 0001E537
	v_rcp_f32_e32 v52, v52                                     // 000000009B28: 7E684534
	v_rcp_f32_e32 v53, v53                                     // 000000009B2C: 7E6A4535
	v_rcp_f32_e32 v54, v54                                     // 000000009B30: 7E6C4536
	v_rcp_f32_e32 v55, v55                                     // 000000009B34: 7E6E4537
	v_mul_f32_e32 v152, v152, v52                              // 000000009B38: 0B306998
	v_mul_f32_e32 v153, v153, v53                              // 000000009B3C: 0B326B99
	v_mul_f32_e32 v154, v154, v54                              // 000000009B40: 0B346D9A
	v_mul_f32_e32 v155, v155, v55                              // 000000009B44: 0B366F9B
	v_mul_f32_e32 v152, v152, v88                              // 000000009B48: 0B30B198
	v_mul_f32_e32 v153, v153, v89                              // 000000009B4C: 0B32B399
	v_mul_f32_e32 v154, v154, v90                              // 000000009B50: 0B34B59A
	v_mul_f32_e32 v155, v155, v91                              // 000000009B54: 0B36B79B
	buffer_load_dwordx4 a[56:59], v44, s[12:15], 0 offen       // 000000009B58: E05C1000 8083382C
	v_mul_f32_e64 v52, -v156, s6                               // 000000009B60: D1050034 20000D9C
	v_mul_f32_e64 v53, -v157, s6                               // 000000009B68: D1050035 20000D9D
	v_mul_f32_e64 v54, -v158, s6                               // 000000009B70: D1050036 20000D9E
	v_mul_f32_e64 v55, -v159, s6                               // 000000009B78: D1050037 20000D9F
	v_exp_f32_e32 v52, v52                                     // 000000009B80: 7E684134
	v_exp_f32_e32 v53, v53                                     // 000000009B84: 7E6A4135
	v_exp_f32_e32 v54, v54                                     // 000000009B88: 7E6C4136
	v_exp_f32_e32 v55, v55                                     // 000000009B8C: 7E6E4137
	buffer_load_dwordx4 a[60:63], v45, s[12:15], 0 offen       // 000000009B90: E05C1000 80833C2D
	s_add_u32 s12, s78, s12                                    // 000000009B98: 800C0C4E
	s_addc_u32 s13, 0, s13                                     // 000000009B9C: 820D0D80
	v_add_f32_e64 v52, v52, 1.0                                // 000000009BA0: D1010034 0001E534
	v_add_f32_e64 v53, v53, 1.0                                // 000000009BA8: D1010035 0001E535
	v_add_f32_e64 v54, v54, 1.0                                // 000000009BB0: D1010036 0001E536
	v_add_f32_e64 v55, v55, 1.0                                // 000000009BB8: D1010037 0001E537
	v_rcp_f32_e32 v52, v52                                     // 000000009BC0: 7E684534
	v_rcp_f32_e32 v53, v53                                     // 000000009BC4: 7E6A4535
	v_rcp_f32_e32 v54, v54                                     // 000000009BC8: 7E6C4536
	v_rcp_f32_e32 v55, v55                                     // 000000009BCC: 7E6E4537
	v_mul_f32_e32 v156, v156, v52                              // 000000009BD0: 0B38699C
	v_mul_f32_e32 v157, v157, v53                              // 000000009BD4: 0B3A6B9D
	v_mul_f32_e32 v158, v158, v54                              // 000000009BD8: 0B3C6D9E
	v_mul_f32_e32 v159, v159, v55                              // 000000009BDC: 0B3E6F9F
	v_mul_f32_e32 v156, v156, v92                              // 000000009BE0: 0B38B99C
	v_mul_f32_e32 v157, v157, v93                              // 000000009BE4: 0B3ABB9D
	v_mul_f32_e32 v158, v158, v94                              // 000000009BE8: 0B3CBD9E
	v_mul_f32_e32 v159, v159, v95                              // 000000009BEC: 0B3EBF9F
	s_waitcnt vmcnt(28)                                        // 000000009BF0: BF8C4F7C
	buffer_load_dwordx4 a[64:67], v42, s[12:15], 0 offen       // 000000009BF4: E05C1000 8083402A
	v_mul_f32_e64 v52, -v160, s6                               // 000000009BFC: D1050034 20000DA0
	v_mul_f32_e64 v53, -v161, s6                               // 000000009C04: D1050035 20000DA1
	v_mul_f32_e64 v54, -v162, s6                               // 000000009C0C: D1050036 20000DA2
	v_mul_f32_e64 v55, -v163, s6                               // 000000009C14: D1050037 20000DA3
	v_exp_f32_e32 v52, v52                                     // 000000009C1C: 7E684134
	v_exp_f32_e32 v53, v53                                     // 000000009C20: 7E6A4135
	v_exp_f32_e32 v54, v54                                     // 000000009C24: 7E6C4136
	v_exp_f32_e32 v55, v55                                     // 000000009C28: 7E6E4137
	buffer_load_dwordx4 a[68:71], v43, s[12:15], 0 offen       // 000000009C2C: E05C1000 8083442B
	v_add_f32_e64 v52, v52, 1.0                                // 000000009C34: D1010034 0001E534
	v_add_f32_e64 v53, v53, 1.0                                // 000000009C3C: D1010035 0001E535
	v_add_f32_e64 v54, v54, 1.0                                // 000000009C44: D1010036 0001E536
	v_add_f32_e64 v55, v55, 1.0                                // 000000009C4C: D1010037 0001E537
	v_rcp_f32_e32 v52, v52                                     // 000000009C54: 7E684534
	v_rcp_f32_e32 v53, v53                                     // 000000009C58: 7E6A4535
	v_rcp_f32_e32 v54, v54                                     // 000000009C5C: 7E6C4536
	v_rcp_f32_e32 v55, v55                                     // 000000009C60: 7E6E4537
	v_mul_f32_e32 v160, v160, v52                              // 000000009C64: 0B4069A0
	v_mul_f32_e32 v161, v161, v53                              // 000000009C68: 0B426BA1
	v_mul_f32_e32 v162, v162, v54                              // 000000009C6C: 0B446DA2
	v_mul_f32_e32 v163, v163, v55                              // 000000009C70: 0B466FA3
	v_mul_f32_e32 v160, v160, v96                              // 000000009C74: 0B40C1A0
	v_mul_f32_e32 v161, v161, v97                              // 000000009C78: 0B42C3A1
	v_mul_f32_e32 v162, v162, v98                              // 000000009C7C: 0B44C5A2
	v_mul_f32_e32 v163, v163, v99                              // 000000009C80: 0B46C7A3
	buffer_load_dwordx4 a[72:75], v44, s[12:15], 0 offen       // 000000009C84: E05C1000 8083482C
	v_mul_f32_e64 v52, -v164, s6                               // 000000009C8C: D1050034 20000DA4
	v_mul_f32_e64 v53, -v165, s6                               // 000000009C94: D1050035 20000DA5
	v_mul_f32_e64 v54, -v166, s6                               // 000000009C9C: D1050036 20000DA6
	v_mul_f32_e64 v55, -v167, s6                               // 000000009CA4: D1050037 20000DA7
	v_exp_f32_e32 v52, v52                                     // 000000009CAC: 7E684134
	v_exp_f32_e32 v53, v53                                     // 000000009CB0: 7E6A4135
	v_exp_f32_e32 v54, v54                                     // 000000009CB4: 7E6C4136
	v_exp_f32_e32 v55, v55                                     // 000000009CB8: 7E6E4137
	buffer_load_dwordx4 a[76:79], v45, s[12:15], 0 offen       // 000000009CBC: E05C1000 80834C2D
	s_add_u32 s12, s78, s12                                    // 000000009CC4: 800C0C4E
	s_addc_u32 s13, 0, s13                                     // 000000009CC8: 820D0D80
	v_add_f32_e64 v52, v52, 1.0                                // 000000009CCC: D1010034 0001E534
	v_add_f32_e64 v53, v53, 1.0                                // 000000009CD4: D1010035 0001E535
	v_add_f32_e64 v54, v54, 1.0                                // 000000009CDC: D1010036 0001E536
	v_add_f32_e64 v55, v55, 1.0                                // 000000009CE4: D1010037 0001E537
	v_rcp_f32_e32 v52, v52                                     // 000000009CEC: 7E684534
	v_rcp_f32_e32 v53, v53                                     // 000000009CF0: 7E6A4535
	v_rcp_f32_e32 v54, v54                                     // 000000009CF4: 7E6C4536
	v_rcp_f32_e32 v55, v55                                     // 000000009CF8: 7E6E4537
	v_mul_f32_e32 v164, v164, v52                              // 000000009CFC: 0B4869A4
	v_mul_f32_e32 v165, v165, v53                              // 000000009D00: 0B4A6BA5
	v_mul_f32_e32 v166, v166, v54                              // 000000009D04: 0B4C6DA6
	v_mul_f32_e32 v167, v167, v55                              // 000000009D08: 0B4E6FA7
	v_mul_f32_e32 v164, v164, v100                             // 000000009D0C: 0B48C9A4
	v_mul_f32_e32 v165, v165, v101                             // 000000009D10: 0B4ACBA5
	v_mul_f32_e32 v166, v166, v102                             // 000000009D14: 0B4CCDA6
	v_mul_f32_e32 v167, v167, v103                             // 000000009D18: 0B4ECFA7
	s_waitcnt vmcnt(28)                                        // 000000009D1C: BF8C4F7C
	buffer_load_dwordx4 a[80:83], v42, s[12:15], 0 offen       // 000000009D20: E05C1000 8083502A
	v_mul_f32_e64 v52, -v168, s6                               // 000000009D28: D1050034 20000DA8
	v_mul_f32_e64 v53, -v169, s6                               // 000000009D30: D1050035 20000DA9
	v_mul_f32_e64 v54, -v170, s6                               // 000000009D38: D1050036 20000DAA
	v_mul_f32_e64 v55, -v171, s6                               // 000000009D40: D1050037 20000DAB
	v_exp_f32_e32 v52, v52                                     // 000000009D48: 7E684134
	v_exp_f32_e32 v53, v53                                     // 000000009D4C: 7E6A4135
	v_exp_f32_e32 v54, v54                                     // 000000009D50: 7E6C4136
	v_exp_f32_e32 v55, v55                                     // 000000009D54: 7E6E4137
	buffer_load_dwordx4 a[84:87], v43, s[12:15], 0 offen       // 000000009D58: E05C1000 8083542B
	v_add_f32_e64 v52, v52, 1.0                                // 000000009D60: D1010034 0001E534
	v_add_f32_e64 v53, v53, 1.0                                // 000000009D68: D1010035 0001E535
	v_add_f32_e64 v54, v54, 1.0                                // 000000009D70: D1010036 0001E536
	v_add_f32_e64 v55, v55, 1.0                                // 000000009D78: D1010037 0001E537
	v_rcp_f32_e32 v52, v52                                     // 000000009D80: 7E684534
	v_rcp_f32_e32 v53, v53                                     // 000000009D84: 7E6A4535
	v_rcp_f32_e32 v54, v54                                     // 000000009D88: 7E6C4536
	v_rcp_f32_e32 v55, v55                                     // 000000009D8C: 7E6E4537
	v_mul_f32_e32 v168, v168, v52                              // 000000009D90: 0B5069A8
	v_mul_f32_e32 v169, v169, v53                              // 000000009D94: 0B526BA9
	v_mul_f32_e32 v170, v170, v54                              // 000000009D98: 0B546DAA
	v_mul_f32_e32 v171, v171, v55                              // 000000009D9C: 0B566FAB
	v_mul_f32_e32 v168, v168, v104                             // 000000009DA0: 0B50D1A8
	v_mul_f32_e32 v169, v169, v105                             // 000000009DA4: 0B52D3A9
	v_mul_f32_e32 v170, v170, v106                             // 000000009DA8: 0B54D5AA
	v_mul_f32_e32 v171, v171, v107                             // 000000009DAC: 0B56D7AB
	buffer_load_dwordx4 a[88:91], v44, s[12:15], 0 offen       // 000000009DB0: E05C1000 8083582C
	v_mul_f32_e64 v52, -v172, s6                               // 000000009DB8: D1050034 20000DAC
	v_mul_f32_e64 v53, -v173, s6                               // 000000009DC0: D1050035 20000DAD
	v_mul_f32_e64 v54, -v174, s6                               // 000000009DC8: D1050036 20000DAE
	v_mul_f32_e64 v55, -v175, s6                               // 000000009DD0: D1050037 20000DAF
	v_exp_f32_e32 v52, v52                                     // 000000009DD8: 7E684134
	v_exp_f32_e32 v53, v53                                     // 000000009DDC: 7E6A4135
	v_exp_f32_e32 v54, v54                                     // 000000009DE0: 7E6C4136
	v_exp_f32_e32 v55, v55                                     // 000000009DE4: 7E6E4137
	buffer_load_dwordx4 a[92:95], v45, s[12:15], 0 offen       // 000000009DE8: E05C1000 80835C2D
	s_add_u32 s12, s78, s12                                    // 000000009DF0: 800C0C4E
	s_addc_u32 s13, 0, s13                                     // 000000009DF4: 820D0D80
	v_add_f32_e64 v52, v52, 1.0                                // 000000009DF8: D1010034 0001E534
	v_add_f32_e64 v53, v53, 1.0                                // 000000009E00: D1010035 0001E535
	v_add_f32_e64 v54, v54, 1.0                                // 000000009E08: D1010036 0001E536
	v_add_f32_e64 v55, v55, 1.0                                // 000000009E10: D1010037 0001E537
	v_rcp_f32_e32 v52, v52                                     // 000000009E18: 7E684534
	v_rcp_f32_e32 v53, v53                                     // 000000009E1C: 7E6A4535
	v_rcp_f32_e32 v54, v54                                     // 000000009E20: 7E6C4536
	v_rcp_f32_e32 v55, v55                                     // 000000009E24: 7E6E4537
	v_mul_f32_e32 v172, v172, v52                              // 000000009E28: 0B5869AC
	v_mul_f32_e32 v173, v173, v53                              // 000000009E2C: 0B5A6BAD
	v_mul_f32_e32 v174, v174, v54                              // 000000009E30: 0B5C6DAE
	v_mul_f32_e32 v175, v175, v55                              // 000000009E34: 0B5E6FAF
	v_mul_f32_e32 v172, v172, v108                             // 000000009E38: 0B58D9AC
	v_mul_f32_e32 v173, v173, v109                             // 000000009E3C: 0B5ADBAD
	v_mul_f32_e32 v174, v174, v110                             // 000000009E40: 0B5CDDAE
	v_mul_f32_e32 v175, v175, v111                             // 000000009E44: 0B5EDFAF
	s_waitcnt vmcnt(28)                                        // 000000009E48: BF8C4F7C
	buffer_load_dwordx4 a[96:99], v42, s[12:15], 0 offen       // 000000009E4C: E05C1000 8083602A
	v_mul_f32_e64 v52, -v176, s6                               // 000000009E54: D1050034 20000DB0
	v_mul_f32_e64 v53, -v177, s6                               // 000000009E5C: D1050035 20000DB1
	v_mul_f32_e64 v54, -v178, s6                               // 000000009E64: D1050036 20000DB2
	v_mul_f32_e64 v55, -v179, s6                               // 000000009E6C: D1050037 20000DB3
	v_exp_f32_e32 v52, v52                                     // 000000009E74: 7E684134
	v_exp_f32_e32 v53, v53                                     // 000000009E78: 7E6A4135
	v_exp_f32_e32 v54, v54                                     // 000000009E7C: 7E6C4136
	v_exp_f32_e32 v55, v55                                     // 000000009E80: 7E6E4137
	buffer_load_dwordx4 a[100:103], v43, s[12:15], 0 offen     // 000000009E84: E05C1000 8083642B
	v_add_f32_e64 v52, v52, 1.0                                // 000000009E8C: D1010034 0001E534
	v_add_f32_e64 v53, v53, 1.0                                // 000000009E94: D1010035 0001E535
	v_add_f32_e64 v54, v54, 1.0                                // 000000009E9C: D1010036 0001E536
	v_add_f32_e64 v55, v55, 1.0                                // 000000009EA4: D1010037 0001E537
	v_rcp_f32_e32 v52, v52                                     // 000000009EAC: 7E684534
	v_rcp_f32_e32 v53, v53                                     // 000000009EB0: 7E6A4535
	v_rcp_f32_e32 v54, v54                                     // 000000009EB4: 7E6C4536
	v_rcp_f32_e32 v55, v55                                     // 000000009EB8: 7E6E4537
	v_mul_f32_e32 v176, v176, v52                              // 000000009EBC: 0B6069B0
	v_mul_f32_e32 v177, v177, v53                              // 000000009EC0: 0B626BB1
	v_mul_f32_e32 v178, v178, v54                              // 000000009EC4: 0B646DB2
	v_mul_f32_e32 v179, v179, v55                              // 000000009EC8: 0B666FB3
	v_mul_f32_e32 v176, v176, v112                             // 000000009ECC: 0B60E1B0
	v_mul_f32_e32 v177, v177, v113                             // 000000009ED0: 0B62E3B1
	v_mul_f32_e32 v178, v178, v114                             // 000000009ED4: 0B64E5B2
	v_mul_f32_e32 v179, v179, v115                             // 000000009ED8: 0B66E7B3
	buffer_load_dwordx4 a[104:107], v44, s[12:15], 0 offen     // 000000009EDC: E05C1000 8083682C
	v_mul_f32_e64 v52, -v180, s6                               // 000000009EE4: D1050034 20000DB4
	v_mul_f32_e64 v53, -v181, s6                               // 000000009EEC: D1050035 20000DB5
	v_mul_f32_e64 v54, -v182, s6                               // 000000009EF4: D1050036 20000DB6
	v_mul_f32_e64 v55, -v183, s6                               // 000000009EFC: D1050037 20000DB7
	v_exp_f32_e32 v52, v52                                     // 000000009F04: 7E684134
	v_exp_f32_e32 v53, v53                                     // 000000009F08: 7E6A4135
	v_exp_f32_e32 v54, v54                                     // 000000009F0C: 7E6C4136
	v_exp_f32_e32 v55, v55                                     // 000000009F10: 7E6E4137
	buffer_load_dwordx4 a[108:111], v45, s[12:15], 0 offen     // 000000009F14: E05C1000 80836C2D
	s_add_u32 s12, s78, s12                                    // 000000009F1C: 800C0C4E
	s_addc_u32 s13, 0, s13                                     // 000000009F20: 820D0D80
	v_add_f32_e64 v52, v52, 1.0                                // 000000009F24: D1010034 0001E534
	v_add_f32_e64 v53, v53, 1.0                                // 000000009F2C: D1010035 0001E535
	v_add_f32_e64 v54, v54, 1.0                                // 000000009F34: D1010036 0001E536
	v_add_f32_e64 v55, v55, 1.0                                // 000000009F3C: D1010037 0001E537
	v_rcp_f32_e32 v52, v52                                     // 000000009F44: 7E684534
	v_rcp_f32_e32 v53, v53                                     // 000000009F48: 7E6A4535
	v_rcp_f32_e32 v54, v54                                     // 000000009F4C: 7E6C4536
	v_rcp_f32_e32 v55, v55                                     // 000000009F50: 7E6E4537
	v_mul_f32_e32 v180, v180, v52                              // 000000009F54: 0B6869B4
	v_mul_f32_e32 v181, v181, v53                              // 000000009F58: 0B6A6BB5
	v_mul_f32_e32 v182, v182, v54                              // 000000009F5C: 0B6C6DB6
	v_mul_f32_e32 v183, v183, v55                              // 000000009F60: 0B6E6FB7
	v_mul_f32_e32 v180, v180, v116                             // 000000009F64: 0B68E9B4
	v_mul_f32_e32 v181, v181, v117                             // 000000009F68: 0B6AEBB5
	v_mul_f32_e32 v182, v182, v118                             // 000000009F6C: 0B6CEDB6
	v_mul_f32_e32 v183, v183, v119                             // 000000009F70: 0B6EEFB7
	s_waitcnt vmcnt(28)                                        // 000000009F74: BF8C4F7C
	buffer_load_dwordx4 a[112:115], v42, s[12:15], 0 offen     // 000000009F78: E05C1000 8083702A
	v_mul_f32_e64 v52, -v184, s6                               // 000000009F80: D1050034 20000DB8
	v_mul_f32_e64 v53, -v185, s6                               // 000000009F88: D1050035 20000DB9
	v_mul_f32_e64 v54, -v186, s6                               // 000000009F90: D1050036 20000DBA
	v_mul_f32_e64 v55, -v187, s6                               // 000000009F98: D1050037 20000DBB
	v_exp_f32_e32 v52, v52                                     // 000000009FA0: 7E684134
	v_exp_f32_e32 v53, v53                                     // 000000009FA4: 7E6A4135
	v_exp_f32_e32 v54, v54                                     // 000000009FA8: 7E6C4136
	v_exp_f32_e32 v55, v55                                     // 000000009FAC: 7E6E4137
	buffer_load_dwordx4 a[116:119], v43, s[12:15], 0 offen     // 000000009FB0: E05C1000 8083742B
	v_add_f32_e64 v52, v52, 1.0                                // 000000009FB8: D1010034 0001E534
	v_add_f32_e64 v53, v53, 1.0                                // 000000009FC0: D1010035 0001E535
	v_add_f32_e64 v54, v54, 1.0                                // 000000009FC8: D1010036 0001E536
	v_add_f32_e64 v55, v55, 1.0                                // 000000009FD0: D1010037 0001E537
	v_rcp_f32_e32 v52, v52                                     // 000000009FD8: 7E684534
	v_rcp_f32_e32 v53, v53                                     // 000000009FDC: 7E6A4535
	v_rcp_f32_e32 v54, v54                                     // 000000009FE0: 7E6C4536
	v_rcp_f32_e32 v55, v55                                     // 000000009FE4: 7E6E4537
	v_mul_f32_e32 v184, v184, v52                              // 000000009FE8: 0B7069B8
	v_mul_f32_e32 v185, v185, v53                              // 000000009FEC: 0B726BB9
	v_mul_f32_e32 v186, v186, v54                              // 000000009FF0: 0B746DBA
	v_mul_f32_e32 v187, v187, v55                              // 000000009FF4: 0B766FBB
	v_mul_f32_e32 v184, v184, v120                             // 000000009FF8: 0B70F1B8
	v_mul_f32_e32 v185, v185, v121                             // 000000009FFC: 0B72F3B9
	v_mul_f32_e32 v186, v186, v122                             // 00000000A000: 0B74F5BA
	v_mul_f32_e32 v187, v187, v123                             // 00000000A004: 0B76F7BB
	buffer_load_dwordx4 a[120:123], v44, s[12:15], 0 offen     // 00000000A008: E05C1000 8083782C
	v_mul_f32_e64 v52, -v188, s6                               // 00000000A010: D1050034 20000DBC
	v_mul_f32_e64 v53, -v189, s6                               // 00000000A018: D1050035 20000DBD
	v_mul_f32_e64 v54, -v190, s6                               // 00000000A020: D1050036 20000DBE
	v_mul_f32_e64 v55, -v191, s6                               // 00000000A028: D1050037 20000DBF
	v_exp_f32_e32 v52, v52                                     // 00000000A030: 7E684134
	v_exp_f32_e32 v53, v53                                     // 00000000A034: 7E6A4135
	v_exp_f32_e32 v54, v54                                     // 00000000A038: 7E6C4136
	v_exp_f32_e32 v55, v55                                     // 00000000A03C: 7E6E4137
	buffer_load_dwordx4 a[124:127], v45, s[12:15], 0 offen     // 00000000A040: E05C1000 80837C2D
	v_add_f32_e64 v52, v52, 1.0                                // 00000000A048: D1010034 0001E534
	v_add_f32_e64 v53, v53, 1.0                                // 00000000A050: D1010035 0001E535
	v_add_f32_e64 v54, v54, 1.0                                // 00000000A058: D1010036 0001E536
	v_add_f32_e64 v55, v55, 1.0                                // 00000000A060: D1010037 0001E537
	v_rcp_f32_e32 v52, v52                                     // 00000000A068: 7E684534
	v_rcp_f32_e32 v53, v53                                     // 00000000A06C: 7E6A4535
	v_rcp_f32_e32 v54, v54                                     // 00000000A070: 7E6C4536
	v_rcp_f32_e32 v55, v55                                     // 00000000A074: 7E6E4537
	v_mul_f32_e32 v188, v188, v52                              // 00000000A078: 0B7869BC
	v_mul_f32_e32 v189, v189, v53                              // 00000000A07C: 0B7A6BBD
	v_mul_f32_e32 v190, v190, v54                              // 00000000A080: 0B7C6DBE
	v_mul_f32_e32 v191, v191, v55                              // 00000000A084: 0B7E6FBF
	v_mul_f32_e32 v188, v188, v124                             // 00000000A088: 0B78F9BC
	v_mul_f32_e32 v189, v189, v125                             // 00000000A08C: 0B7AFBBD
	v_mul_f32_e32 v190, v190, v126                             // 00000000A090: 0B7CFDBE
	v_mul_f32_e32 v191, v191, v127                             // 00000000A094: 0B7EFFBF
	v_lshlrev_b32_e32 v52, 2, v0                               // 00000000A098: 24680082
	s_mul_i32 s60, s82, s71                                    // 00000000A09C: 923C4752
	v_add_u32_e64 v80, v52, s60                                // 00000000A0A0: D1340050 00007934
	v_mov_b32_e32 v81, 0                                       // 00000000A0A8: 7EA20280
	s_mul_i32 s60, s83, s71                                    // 00000000A0AC: 923C4753
	v_add_u32_e64 v82, v52, s60                                // 00000000A0B0: D1340052 00007934
	v_mov_b32_e32 v83, 0                                       // 00000000A0B8: 7EA60280
	s_mul_i32 s60, s84, s71                                    // 00000000A0BC: 923C4754
	v_add_u32_e64 v84, v52, s60                                // 00000000A0C0: D1340054 00007934
	v_mov_b32_e32 v85, 0                                       // 00000000A0C8: 7EAA0280
	s_mul_i32 s60, s85, s71                                    // 00000000A0CC: 923C4755
	v_add_u32_e64 v86, v52, s60                                // 00000000A0D0: D1340056 00007934
	v_mov_b32_e32 v87, 0                                       // 00000000A0D8: 7EAE0280
	s_mul_i32 s60, s86, s71                                    // 00000000A0DC: 923C4756
	v_add_u32_e64 v88, v52, s60                                // 00000000A0E0: D1340058 00007934
	v_mov_b32_e32 v89, 0                                       // 00000000A0E8: 7EB20280
	s_mul_i32 s60, s87, s71                                    // 00000000A0EC: 923C4757
	v_add_u32_e64 v90, v52, s60                                // 00000000A0F0: D134005A 00007934
	v_mov_b32_e32 v91, 0                                       // 00000000A0F8: 7EB60280
	s_mul_i32 s60, s88, s71                                    // 00000000A0FC: 923C4758
	v_add_u32_e64 v92, v52, s60                                // 00000000A100: D134005C 00007934
	v_mov_b32_e32 v93, 0                                       // 00000000A108: 7EBA0280
	s_mul_i32 s60, s89, s71                                    // 00000000A10C: 923C4759
	v_add_u32_e64 v94, v52, s60                                // 00000000A110: D134005E 00007934
	v_mov_b32_e32 v95, 0                                       // 00000000A118: 7EBE0280
	buffer_load_dword v12, v5, s[16:19], 0 offen               // 00000000A11C: E0501000 80040C05
	v_mov_b32_e32 v22, 0x358637bd                              // 00000000A124: 7E2C02FF 358637BD
	v_mov_b32_e32 v23, 0x358637bd                              // 00000000A12C: 7E2E02FF 358637BD
	v_max3_f32 v22, |v128|, |v129|, v22                        // 00000000A134: D1D30316 045B0380
	v_max3_f32 v22, |v130|, |v131|, v22                        // 00000000A13C: D1D30316 045B0782
	v_max3_f32 v23, |v132|, |v133|, v23                        // 00000000A144: D1D30317 045F0B84
	v_max3_f32 v23, |v134|, |v135|, v23                        // 00000000A14C: D1D30317 045F0F86
	v_max3_f32 v22, |v136|, |v137|, v22                        // 00000000A154: D1D30316 045B1388
	v_max3_f32 v22, |v138|, |v139|, v22                        // 00000000A15C: D1D30316 045B178A
	v_max3_f32 v23, |v140|, |v141|, v23                        // 00000000A164: D1D30317 045F1B8C
	v_max3_f32 v23, |v142|, |v143|, v23                        // 00000000A16C: D1D30317 045F1F8E
	v_max3_f32 v22, |v144|, |v145|, v22                        // 00000000A174: D1D30316 045B2390
	v_max3_f32 v22, |v146|, |v147|, v22                        // 00000000A17C: D1D30316 045B2792
	v_max3_f32 v23, |v148|, |v149|, v23                        // 00000000A184: D1D30317 045F2B94
	v_max3_f32 v23, |v150|, |v151|, v23                        // 00000000A18C: D1D30317 045F2F96
	v_max3_f32 v22, |v152|, |v153|, v22                        // 00000000A194: D1D30316 045B3398
	v_max3_f32 v22, |v154|, |v155|, v22                        // 00000000A19C: D1D30316 045B379A
	v_max3_f32 v23, |v156|, |v157|, v23                        // 00000000A1A4: D1D30317 045F3B9C
	v_max3_f32 v23, |v158|, |v159|, v23                        // 00000000A1AC: D1D30317 045F3F9E
	v_max3_f32 v22, |v160|, |v161|, v22                        // 00000000A1B4: D1D30316 045B43A0
	v_max3_f32 v22, |v162|, |v163|, v22                        // 00000000A1BC: D1D30316 045B47A2
	v_max3_f32 v23, |v164|, |v165|, v23                        // 00000000A1C4: D1D30317 045F4BA4
	v_max3_f32 v23, |v166|, |v167|, v23                        // 00000000A1CC: D1D30317 045F4FA6
	v_max3_f32 v22, |v168|, |v169|, v22                        // 00000000A1D4: D1D30316 045B53A8
	v_max3_f32 v22, |v170|, |v171|, v22                        // 00000000A1DC: D1D30316 045B57AA
	v_max3_f32 v23, |v172|, |v173|, v23                        // 00000000A1E4: D1D30317 045F5BAC
	v_max3_f32 v23, |v174|, |v175|, v23                        // 00000000A1EC: D1D30317 045F5FAE
	v_max3_f32 v22, |v176|, |v177|, v22                        // 00000000A1F4: D1D30316 045B63B0
	v_max3_f32 v22, |v178|, |v179|, v22                        // 00000000A1FC: D1D30316 045B67B2
	v_max3_f32 v23, |v180|, |v181|, v23                        // 00000000A204: D1D30317 045F6BB4
	v_max3_f32 v23, |v182|, |v183|, v23                        // 00000000A20C: D1D30317 045F6FB6
	v_max3_f32 v22, |v184|, |v185|, v22                        // 00000000A214: D1D30316 045B73B8
	v_max3_f32 v22, |v186|, |v187|, v22                        // 00000000A21C: D1D30316 045B77BA
	v_max3_f32 v23, |v188|, |v189|, v23                        // 00000000A224: D1D30317 045F7BBC
	v_max3_f32 v23, |v190|, |v191|, v23                        // 00000000A22C: D1D30317 045F7FBE
	v_lshlrev_b32_e32 v52, 3, v0                               // 00000000A234: 24680083
	s_mul_i32 s60, 0x200, s7                                   // 00000000A238: 923C07FF 00000200
	v_add_u32_e32 v52, s60, v52                                // 00000000A240: 6868683C
	ds_write_b64 v52, v[22:23] offset:16640                    // 00000000A244: D89A4100 00001634
	s_waitcnt lgkmcnt(0)                                       // 00000000A24C: BF8CC07F
	s_barrier                                                  // 00000000A250: BF8A0000
	v_and_b32_e32 v52, 15, v0                                  // 00000000A254: 2668008F
	v_lshlrev_b32_e32 v52, 3, v52                              // 00000000A258: 24686883
	ds_read_b64 v[96:97], v52 offset:16640                     // 00000000A25C: D8EC4100 60000034
	ds_read_b64 v[98:99], v52 offset:16768                     // 00000000A264: D8EC4180 62000034
	ds_read_b64 v[100:101], v52 offset:16896                   // 00000000A26C: D8EC4200 64000034
	ds_read_b64 v[102:103], v52 offset:17024                   // 00000000A274: D8EC4280 66000034
	ds_read_b64 v[104:105], v52 offset:17152                   // 00000000A27C: D8EC4300 68000034
	ds_read_b64 v[106:107], v52 offset:17280                   // 00000000A284: D8EC4380 6A000034
	ds_read_b64 v[108:109], v52 offset:17408                   // 00000000A28C: D8EC4400 6C000034
	ds_read_b64 v[110:111], v52 offset:17536                   // 00000000A294: D8EC4480 6E000034
	ds_read_b64 v[112:113], v52 offset:17664                   // 00000000A29C: D8EC4500 70000034
	ds_read_b64 v[114:115], v52 offset:17792                   // 00000000A2A4: D8EC4580 72000034
	ds_read_b64 v[116:117], v52 offset:17920                   // 00000000A2AC: D8EC4600 74000034
	ds_read_b64 v[118:119], v52 offset:18048                   // 00000000A2B4: D8EC4680 76000034
	ds_read_b64 v[120:121], v52 offset:18176                   // 00000000A2BC: D8EC4700 78000034
	ds_read_b64 v[122:123], v52 offset:18304                   // 00000000A2C4: D8EC4780 7A000034
	ds_read_b64 v[124:125], v52 offset:18432                   // 00000000A2CC: D8EC4800 7C000034
	ds_read_b64 v[126:127], v52 offset:18560                   // 00000000A2D4: D8EC4880 7E000034
	s_waitcnt lgkmcnt(0)                                       // 00000000A2DC: BF8CC07F
	v_max3_f32 v22, |v96|, |v98|, v22                          // 00000000A2E0: D1D30316 045AC560
	v_max3_f32 v23, |v97|, |v99|, v23                          // 00000000A2E8: D1D30317 045EC761
	v_max3_f32 v22, |v100|, |v102|, v22                        // 00000000A2F0: D1D30316 045ACD64
	v_max3_f32 v23, |v101|, |v103|, v23                        // 00000000A2F8: D1D30317 045ECF65
	v_max3_f32 v22, |v104|, |v106|, v22                        // 00000000A300: D1D30316 045AD568
	v_max3_f32 v23, |v105|, |v107|, v23                        // 00000000A308: D1D30317 045ED769
	v_max3_f32 v22, |v108|, |v110|, v22                        // 00000000A310: D1D30316 045ADD6C
	v_max3_f32 v23, |v109|, |v111|, v23                        // 00000000A318: D1D30317 045EDF6D
	v_max3_f32 v22, |v112|, |v114|, v22                        // 00000000A320: D1D30316 045AE570
	v_max3_f32 v23, |v113|, |v115|, v23                        // 00000000A328: D1D30317 045EE771
	v_max3_f32 v22, |v116|, |v118|, v22                        // 00000000A330: D1D30316 045AED74
	v_max3_f32 v23, |v117|, |v119|, v23                        // 00000000A338: D1D30317 045EEF75
	v_max3_f32 v22, |v120|, |v122|, v22                        // 00000000A340: D1D30316 045AF578
	v_max3_f32 v23, |v121|, |v123|, v23                        // 00000000A348: D1D30317 045EF779
	v_max3_f32 v22, |v124|, |v126|, v22                        // 00000000A350: D1D30316 045AFD7C
	v_max3_f32 v23, |v125|, |v127|, v23                        // 00000000A358: D1D30317 045EFF7D
	v_rcp_f32_e32 v22, v22                                     // 00000000A360: 7E2C4516
	v_rcp_f32_e32 v23, v23                                     // 00000000A364: 7E2E4517
	v_mov_b32_e32 v52, 0x43e00000                              // 00000000A368: 7E6802FF 43E00000
	v_mul_f32_e32 v22, v52, v22                                // 00000000A370: 0A2C2D34
	v_mul_f32_e32 v23, v52, v23                                // 00000000A374: 0A2E2F34
	v_mul_f32_e32 v128, v22, v128                              // 00000000A378: 0B010116
	v_mul_f32_e32 v129, v22, v129                              // 00000000A37C: 0B030316
	v_mul_f32_e32 v130, v22, v130                              // 00000000A380: 0B050516
	v_mul_f32_e32 v131, v22, v131                              // 00000000A384: 0B070716
	v_cvt_pk_fp8_f32 v128, v128, v129                          // 00000000A388: D2A20080 00030380
	v_cvt_pk_fp8_f32 v128, v130, v131 op_sel:[0,0,1]           // 00000000A390: D2A24080 00030782
	v_mul_f32_e32 v132, v23, v132                              // 00000000A398: 0B090917
	v_mul_f32_e32 v133, v23, v133                              // 00000000A39C: 0B0B0B17
	v_mul_f32_e32 v134, v23, v134                              // 00000000A3A0: 0B0D0D17
	v_mul_f32_e32 v135, v23, v135                              // 00000000A3A4: 0B0F0F17
	v_cvt_pk_fp8_f32 v129, v132, v133                          // 00000000A3A8: D2A20081 00030B84
	v_cvt_pk_fp8_f32 v129, v134, v135 op_sel:[0,0,1]           // 00000000A3B0: D2A24081 00030F86
	v_mul_f32_e32 v136, v22, v136                              // 00000000A3B8: 0B111116
	v_mul_f32_e32 v137, v22, v137                              // 00000000A3BC: 0B131316
	v_mul_f32_e32 v138, v22, v138                              // 00000000A3C0: 0B151516
	v_mul_f32_e32 v139, v22, v139                              // 00000000A3C4: 0B171716
	v_cvt_pk_fp8_f32 v130, v136, v137                          // 00000000A3C8: D2A20082 00031388
	v_cvt_pk_fp8_f32 v130, v138, v139 op_sel:[0,0,1]           // 00000000A3D0: D2A24082 0003178A
	v_mul_f32_e32 v140, v23, v140                              // 00000000A3D8: 0B191917
	v_mul_f32_e32 v141, v23, v141                              // 00000000A3DC: 0B1B1B17
	v_mul_f32_e32 v142, v23, v142                              // 00000000A3E0: 0B1D1D17
	v_mul_f32_e32 v143, v23, v143                              // 00000000A3E4: 0B1F1F17
	v_cvt_pk_fp8_f32 v131, v140, v141                          // 00000000A3E8: D2A20083 00031B8C
	v_cvt_pk_fp8_f32 v131, v142, v143 op_sel:[0,0,1]           // 00000000A3F0: D2A24083 00031F8E
	v_mul_f32_e32 v144, v22, v144                              // 00000000A3F8: 0B212116
	v_mul_f32_e32 v145, v22, v145                              // 00000000A3FC: 0B232316
	v_mul_f32_e32 v146, v22, v146                              // 00000000A400: 0B252516
	v_mul_f32_e32 v147, v22, v147                              // 00000000A404: 0B272716
	v_cvt_pk_fp8_f32 v132, v144, v145                          // 00000000A408: D2A20084 00032390
	v_cvt_pk_fp8_f32 v132, v146, v147 op_sel:[0,0,1]           // 00000000A410: D2A24084 00032792
	v_mul_f32_e32 v148, v23, v148                              // 00000000A418: 0B292917
	v_mul_f32_e32 v149, v23, v149                              // 00000000A41C: 0B2B2B17
	v_mul_f32_e32 v150, v23, v150                              // 00000000A420: 0B2D2D17
	v_mul_f32_e32 v151, v23, v151                              // 00000000A424: 0B2F2F17
	v_cvt_pk_fp8_f32 v133, v148, v149                          // 00000000A428: D2A20085 00032B94
	v_cvt_pk_fp8_f32 v133, v150, v151 op_sel:[0,0,1]           // 00000000A430: D2A24085 00032F96
	v_mul_f32_e32 v152, v22, v152                              // 00000000A438: 0B313116
	v_mul_f32_e32 v153, v22, v153                              // 00000000A43C: 0B333316
	v_mul_f32_e32 v154, v22, v154                              // 00000000A440: 0B353516
	v_mul_f32_e32 v155, v22, v155                              // 00000000A444: 0B373716
	v_cvt_pk_fp8_f32 v134, v152, v153                          // 00000000A448: D2A20086 00033398
	v_cvt_pk_fp8_f32 v134, v154, v155 op_sel:[0,0,1]           // 00000000A450: D2A24086 0003379A
	v_mul_f32_e32 v156, v23, v156                              // 00000000A458: 0B393917
	v_mul_f32_e32 v157, v23, v157                              // 00000000A45C: 0B3B3B17
	v_mul_f32_e32 v158, v23, v158                              // 00000000A460: 0B3D3D17
	v_mul_f32_e32 v159, v23, v159                              // 00000000A464: 0B3F3F17
	v_cvt_pk_fp8_f32 v135, v156, v157                          // 00000000A468: D2A20087 00033B9C
	v_cvt_pk_fp8_f32 v135, v158, v159 op_sel:[0,0,1]           // 00000000A470: D2A24087 00033F9E
	v_mul_f32_e32 v160, v22, v160                              // 00000000A478: 0B414116
	v_mul_f32_e32 v161, v22, v161                              // 00000000A47C: 0B434316
	v_mul_f32_e32 v162, v22, v162                              // 00000000A480: 0B454516
	v_mul_f32_e32 v163, v22, v163                              // 00000000A484: 0B474716
	v_cvt_pk_fp8_f32 v136, v160, v161                          // 00000000A488: D2A20088 000343A0
	v_cvt_pk_fp8_f32 v136, v162, v163 op_sel:[0,0,1]           // 00000000A490: D2A24088 000347A2
	v_mul_f32_e32 v164, v23, v164                              // 00000000A498: 0B494917
	v_mul_f32_e32 v165, v23, v165                              // 00000000A49C: 0B4B4B17
	v_mul_f32_e32 v166, v23, v166                              // 00000000A4A0: 0B4D4D17
	v_mul_f32_e32 v167, v23, v167                              // 00000000A4A4: 0B4F4F17
	v_cvt_pk_fp8_f32 v137, v164, v165                          // 00000000A4A8: D2A20089 00034BA4
	v_cvt_pk_fp8_f32 v137, v166, v167 op_sel:[0,0,1]           // 00000000A4B0: D2A24089 00034FA6
	v_mul_f32_e32 v168, v22, v168                              // 00000000A4B8: 0B515116
	v_mul_f32_e32 v169, v22, v169                              // 00000000A4BC: 0B535316
	v_mul_f32_e32 v170, v22, v170                              // 00000000A4C0: 0B555516
	v_mul_f32_e32 v171, v22, v171                              // 00000000A4C4: 0B575716
	v_cvt_pk_fp8_f32 v138, v168, v169                          // 00000000A4C8: D2A2008A 000353A8
	v_cvt_pk_fp8_f32 v138, v170, v171 op_sel:[0,0,1]           // 00000000A4D0: D2A2408A 000357AA
	v_mul_f32_e32 v172, v23, v172                              // 00000000A4D8: 0B595917
	v_mul_f32_e32 v173, v23, v173                              // 00000000A4DC: 0B5B5B17
	v_mul_f32_e32 v174, v23, v174                              // 00000000A4E0: 0B5D5D17
	v_mul_f32_e32 v175, v23, v175                              // 00000000A4E4: 0B5F5F17
	v_cvt_pk_fp8_f32 v139, v172, v173                          // 00000000A4E8: D2A2008B 00035BAC
	v_cvt_pk_fp8_f32 v139, v174, v175 op_sel:[0,0,1]           // 00000000A4F0: D2A2408B 00035FAE
	v_mul_f32_e32 v176, v22, v176                              // 00000000A4F8: 0B616116
	v_mul_f32_e32 v177, v22, v177                              // 00000000A4FC: 0B636316
	v_mul_f32_e32 v178, v22, v178                              // 00000000A500: 0B656516
	v_mul_f32_e32 v179, v22, v179                              // 00000000A504: 0B676716
	v_cvt_pk_fp8_f32 v140, v176, v177                          // 00000000A508: D2A2008C 000363B0
	v_cvt_pk_fp8_f32 v140, v178, v179 op_sel:[0,0,1]           // 00000000A510: D2A2408C 000367B2
	v_mul_f32_e32 v180, v23, v180                              // 00000000A518: 0B696917
	v_mul_f32_e32 v181, v23, v181                              // 00000000A51C: 0B6B6B17
	v_mul_f32_e32 v182, v23, v182                              // 00000000A520: 0B6D6D17
	v_mul_f32_e32 v183, v23, v183                              // 00000000A524: 0B6F6F17
	v_cvt_pk_fp8_f32 v141, v180, v181                          // 00000000A528: D2A2008D 00036BB4
	v_cvt_pk_fp8_f32 v141, v182, v183 op_sel:[0,0,1]           // 00000000A530: D2A2408D 00036FB6
	v_mul_f32_e32 v184, v22, v184                              // 00000000A538: 0B717116
	v_mul_f32_e32 v185, v22, v185                              // 00000000A53C: 0B737316
	v_mul_f32_e32 v186, v22, v186                              // 00000000A540: 0B757516
	v_mul_f32_e32 v187, v22, v187                              // 00000000A544: 0B777716
	v_cvt_pk_fp8_f32 v142, v184, v185                          // 00000000A548: D2A2008E 000373B8
	v_cvt_pk_fp8_f32 v142, v186, v187 op_sel:[0,0,1]           // 00000000A550: D2A2408E 000377BA
	v_mul_f32_e32 v188, v23, v188                              // 00000000A558: 0B797917
	v_mul_f32_e32 v189, v23, v189                              // 00000000A55C: 0B7B7B17
	v_mul_f32_e32 v190, v23, v190                              // 00000000A560: 0B7D7D17
	v_mul_f32_e32 v191, v23, v191                              // 00000000A564: 0B7F7F17
	v_cvt_pk_fp8_f32 v143, v188, v189                          // 00000000A568: D2A2008F 00037BBC
	v_cvt_pk_fp8_f32 v143, v190, v191 op_sel:[0,0,1]           // 00000000A570: D2A2408F 00037FBE
	v_rcp_f32_e32 v24, v22                                     // 00000000A578: 7E304516
	v_rcp_f32_e32 v25, v23                                     // 00000000A57C: 7E324517
	v_lshrrev_b32_e32 v52, 5, v0                               // 00000000A580: 20680085
	v_lshlrev_b32_e32 v53, 5, v52                              // 00000000A584: 246A6885
	v_and_b32_e32 v52, 31, v0                                  // 00000000A588: 2668009F
	v_lshrrev_b32_e32 v54, 4, v52                              // 00000000A58C: 206C6884
	v_add_u32_e32 v53, v54, v53                                // 00000000A590: 686A6B36
	v_and_b32_e32 v52, 15, v0                                  // 00000000A594: 2668008F
	v_lshlrev_b32_e32 v52, 1, v52                              // 00000000A598: 24686881
	v_add_u32_e32 v53, v52, v53                                // 00000000A59C: 686A6B34
	v_lshlrev_b32_e32 v52, 2, v53                              // 00000000A5A0: 24686A82
	s_mul_i32 s60, 0x100, s7                                   // 00000000A5A4: 923C07FF 00000100
	v_add_u32_e64 v52, v52, s60                                // 00000000A5AC: D1340034 00007934
	ds_write_b32 v52, v128 offset:18688                        // 00000000A5B4: D81A4900 00008034
	ds_write_b32 v52, v129 offset:26880                        // 00000000A5BC: D81A6900 00008134
	ds_write_b32 v52, v130 offset:19712                        // 00000000A5C4: D81A4D00 00008234
	ds_write_b32 v52, v131 offset:27904                        // 00000000A5CC: D81A6D00 00008334
	ds_write_b32 v52, v132 offset:20736                        // 00000000A5D4: D81A5100 00008434
	ds_write_b32 v52, v133 offset:28928                        // 00000000A5DC: D81A7100 00008534
	ds_write_b32 v52, v134 offset:21760                        // 00000000A5E4: D81A5500 00008634
	ds_write_b32 v52, v135 offset:29952                        // 00000000A5EC: D81A7500 00008734
	ds_write_b32 v52, v136 offset:22784                        // 00000000A5F4: D81A5900 00008834
	ds_write_b32 v52, v137 offset:30976                        // 00000000A5FC: D81A7900 00008934
	ds_write_b32 v52, v138 offset:23808                        // 00000000A604: D81A5D00 00008A34
	ds_write_b32 v52, v139 offset:32000                        // 00000000A60C: D81A7D00 00008B34
	ds_write_b32 v52, v140 offset:24832                        // 00000000A614: D81A6100 00008C34
	ds_write_b32 v52, v141 offset:33024                        // 00000000A61C: D81A8100 00008D34
	ds_write_b32 v52, v142 offset:25856                        // 00000000A624: D81A6500 00008E34
	ds_write_b32 v52, v143 offset:34048                        // 00000000A62C: D81A8500 00008F34
	s_waitcnt lgkmcnt(0)                                       // 00000000A634: BF8CC07F
	s_barrier                                                  // 00000000A638: BF8A0000
	v_lshrrev_b32_e32 v52, 4, v0                               // 00000000A63C: 20680084
	v_lshlrev_b32_e32 v53, 6, v52                              // 00000000A640: 246A6886
	v_and_b32_e32 v52, 15, v0                                  // 00000000A644: 2668008F
	v_lshlrev_b32_e32 v52, 1, v52                              // 00000000A648: 24686881
	v_add_u32_e32 v53, v52, v53                                // 00000000A64C: 686A6B34
	v_lshlrev_b32_e32 v52, 2, v53                              // 00000000A650: 24686A82
	ds_read_b64 v[128:129], v52 offset:18688                   // 00000000A654: D8EC4900 80000034
	ds_read_b64 v[130:131], v52 offset:18816                   // 00000000A65C: D8EC4980 82000034
	ds_read_b64 v[132:133], v52 offset:19712                   // 00000000A664: D8EC4D00 84000034
	ds_read_b64 v[134:135], v52 offset:19840                   // 00000000A66C: D8EC4D80 86000034
	ds_read_b64 v[136:137], v52 offset:20736                   // 00000000A674: D8EC5100 88000034
	ds_read_b64 v[138:139], v52 offset:20864                   // 00000000A67C: D8EC5180 8A000034
	ds_read_b64 v[140:141], v52 offset:21760                   // 00000000A684: D8EC5500 8C000034
	ds_read_b64 v[142:143], v52 offset:21888                   // 00000000A68C: D8EC5580 8E000034
	ds_read_b64 v[144:145], v52 offset:22784                   // 00000000A694: D8EC5900 90000034
	ds_read_b64 v[146:147], v52 offset:22912                   // 00000000A69C: D8EC5980 92000034
	ds_read_b64 v[148:149], v52 offset:23808                   // 00000000A6A4: D8EC5D00 94000034
	ds_read_b64 v[150:151], v52 offset:23936                   // 00000000A6AC: D8EC5D80 96000034
	ds_read_b64 v[152:153], v52 offset:24832                   // 00000000A6B4: D8EC6100 98000034
	ds_read_b64 v[154:155], v52 offset:24960                   // 00000000A6BC: D8EC6180 9A000034
	ds_read_b64 v[156:157], v52 offset:25856                   // 00000000A6C4: D8EC6500 9C000034
	ds_read_b64 v[158:159], v52 offset:25984                   // 00000000A6CC: D8EC6580 9E000034
	ds_read_b64 v[160:161], v52 offset:26880                   // 00000000A6D4: D8EC6900 A0000034
	ds_read_b64 v[162:163], v52 offset:27008                   // 00000000A6DC: D8EC6980 A2000034
	ds_read_b64 v[164:165], v52 offset:27904                   // 00000000A6E4: D8EC6D00 A4000034
	ds_read_b64 v[166:167], v52 offset:28032                   // 00000000A6EC: D8EC6D80 A6000034
	ds_read_b64 v[168:169], v52 offset:28928                   // 00000000A6F4: D8EC7100 A8000034
	ds_read_b64 v[170:171], v52 offset:29056                   // 00000000A6FC: D8EC7180 AA000034
	ds_read_b64 v[172:173], v52 offset:29952                   // 00000000A704: D8EC7500 AC000034
	ds_read_b64 v[174:175], v52 offset:30080                   // 00000000A70C: D8EC7580 AE000034
	ds_read_b64 v[176:177], v52 offset:30976                   // 00000000A714: D8EC7900 B0000034
	ds_read_b64 v[178:179], v52 offset:31104                   // 00000000A71C: D8EC7980 B2000034
	ds_read_b64 v[180:181], v52 offset:32000                   // 00000000A724: D8EC7D00 B4000034
	ds_read_b64 v[182:183], v52 offset:32128                   // 00000000A72C: D8EC7D80 B6000034
	ds_read_b64 v[184:185], v52 offset:33024                   // 00000000A734: D8EC8100 B8000034
	ds_read_b64 v[186:187], v52 offset:33152                   // 00000000A73C: D8EC8180 BA000034
	ds_read_b64 v[188:189], v52 offset:34048                   // 00000000A744: D8EC8500 BC000034
	ds_read_b64 v[190:191], v52 offset:34176                   // 00000000A74C: D8EC8580 BE000034
	s_add_u32 s12, s56, s12                                    // 00000000A754: 800C0C38
	s_addc_u32 s13, 0, s13                                     // 00000000A758: 820D0D80
	s_add_u32 s16, s79, s16                                    // 00000000A75C: 8010104F
	s_addc_u32 s17, 0, s17                                     // 00000000A760: 82111180
	s_waitcnt lgkmcnt(0)                                       // 00000000A764: BF8CC07F
	s_barrier                                                  // 00000000A768: BF8A0000
	v_mov_b32_e32 v192, 0                                      // 00000000A76C: 7F800280
	v_mov_b32_e32 v224, 0                                      // 00000000A770: 7FC00280
	v_mov_b32_e32 v193, 0                                      // 00000000A774: 7F820280
	v_mov_b32_e32 v225, 0                                      // 00000000A778: 7FC20280
	v_mov_b32_e32 v194, 0                                      // 00000000A77C: 7F840280
	v_mov_b32_e32 v226, 0                                      // 00000000A780: 7FC40280
	v_mov_b32_e32 v195, 0                                      // 00000000A784: 7F860280
	v_mov_b32_e32 v227, 0                                      // 00000000A788: 7FC60280
	v_mov_b32_e32 v196, 0                                      // 00000000A78C: 7F880280
	v_mov_b32_e32 v228, 0                                      // 00000000A790: 7FC80280
	v_mov_b32_e32 v197, 0                                      // 00000000A794: 7F8A0280
	v_mov_b32_e32 v229, 0                                      // 00000000A798: 7FCA0280
	v_mov_b32_e32 v198, 0                                      // 00000000A79C: 7F8C0280
	v_mov_b32_e32 v230, 0                                      // 00000000A7A0: 7FCC0280
	v_mov_b32_e32 v199, 0                                      // 00000000A7A4: 7F8E0280
	v_mov_b32_e32 v231, 0                                      // 00000000A7A8: 7FCE0280
	v_mov_b32_e32 v200, 0                                      // 00000000A7AC: 7F900280
	v_mov_b32_e32 v232, 0                                      // 00000000A7B0: 7FD00280
	v_mov_b32_e32 v201, 0                                      // 00000000A7B4: 7F920280
	v_mov_b32_e32 v233, 0                                      // 00000000A7B8: 7FD20280
	v_mov_b32_e32 v202, 0                                      // 00000000A7BC: 7F940280
	v_mov_b32_e32 v234, 0                                      // 00000000A7C0: 7FD40280
	v_mov_b32_e32 v203, 0                                      // 00000000A7C4: 7F960280
	v_mov_b32_e32 v235, 0                                      // 00000000A7C8: 7FD60280
	v_mov_b32_e32 v204, 0                                      // 00000000A7CC: 7F980280
	v_mov_b32_e32 v236, 0                                      // 00000000A7D0: 7FD80280
	v_mov_b32_e32 v205, 0                                      // 00000000A7D4: 7F9A0280
	v_mov_b32_e32 v237, 0                                      // 00000000A7D8: 7FDA0280
	v_mov_b32_e32 v206, 0                                      // 00000000A7DC: 7F9C0280
	v_mov_b32_e32 v238, 0                                      // 00000000A7E0: 7FDC0280
	v_mov_b32_e32 v207, 0                                      // 00000000A7E4: 7F9E0280
	v_mov_b32_e32 v239, 0                                      // 00000000A7E8: 7FDE0280
	ds_write_b64 v3, v[192:193] offset:18688                   // 00000000A7EC: D89A4900 0000C003
	ds_write_b64 v3, v[194:195] offset:27392                   // 00000000A7F4: D89A6B00 0000C203
	ds_write_b64 v3, v[196:197] offset:20864                   // 00000000A7FC: D89A5180 0000C403
	ds_write_b64 v3, v[198:199] offset:29568                   // 00000000A804: D89A7380 0000C603
	ds_write_b64 v3, v[200:201] offset:23040                   // 00000000A80C: D89A5A00 0000C803
	ds_write_b64 v3, v[202:203] offset:31744                   // 00000000A814: D89A7C00 0000CA03
	ds_write_b64 v3, v[204:205] offset:25216                   // 00000000A81C: D89A6280 0000CC03
	ds_write_b64 v3, v[206:207] offset:33920                   // 00000000A824: D89A8480 0000CE03
	s_mov_b32 s80, 0                                           // 00000000A82C: BED00080
	s_waitcnt vmcnt(0) expcnt(0) lgkmcnt(0)                    // 00000000A830: BF8C0000

000000000000a834 <label_1E8D>:
	s_waitcnt vmcnt(29) lgkmcnt(0)                             // 00000000A834: BF8C407D
	s_barrier                                                  // 00000000A838: BF8A0000
	v_mfma_f32_16x16x32_fp8_fp8 v[192:195], a[0:1], v[128:129], 0// 00000000A83C: D3F300C0 0A030100
	buffer_load_dwordx4 a[128:131], v42, s[12:15], 0 offen     // 00000000A844: E05C1000 8083802A
	v_mfma_f32_16x16x32_fp8_fp8 v[192:195], a[2:3], v[130:131], v[192:195]// 00000000A84C: D3F300C0 0F030502
	ds_read_b32 v64, v4 offset:18688                           // 00000000A854: D86C4900 40000004
	ds_read_b32 v65, v4 offset:23040                           // 00000000A85C: D86C5A00 41000004
	v_mfma_f32_16x16x32_fp8_fp8 v[196:199], a[0:1], v[160:161], 0// 00000000A864: D3F300C4 0A034100
	v_mfma_f32_16x16x32_fp8_fp8 v[196:199], a[2:3], v[162:163], v[196:199]// 00000000A86C: D3F300C4 0F134502
	ds_read_b32 v66, v4 offset:18720                           // 00000000A874: D86C4920 42000004
	ds_read_b32 v67, v4 offset:23072                           // 00000000A87C: D86C5A20 43000004
	v_mfma_f32_16x16x32_fp8_fp8 v[200:203], a[4:5], v[128:129], 0// 00000000A884: D3F300C8 0A030104
	buffer_load_dwordx4 a[132:135], v43, s[12:15], 0 offen     // 00000000A88C: E05C1000 8083842B
	v_mfma_f32_16x16x32_fp8_fp8 v[200:203], a[6:7], v[130:131], v[200:203]// 00000000A894: D3F300C8 0F230506
	ds_read_b32 v68, v4 offset:18752                           // 00000000A89C: D86C4940 44000004
	ds_read_b32 v69, v4 offset:23104                           // 00000000A8A4: D86C5A40 45000004
	v_mfma_f32_16x16x32_fp8_fp8 v[204:207], a[4:5], v[160:161], 0// 00000000A8AC: D3F300CC 0A034104
	v_mfma_f32_16x16x32_fp8_fp8 v[204:207], a[6:7], v[162:163], v[204:207]// 00000000A8B4: D3F300CC 0F334506
	ds_read_b32 v70, v4 offset:18784                           // 00000000A8BC: D86C4960 46000004
	ds_read_b32 v71, v4 offset:23136                           // 00000000A8C4: D86C5A60 47000004
	v_mfma_f32_16x16x32_fp8_fp8 v[208:211], a[8:9], v[128:129], 0// 00000000A8CC: D3F300D0 0A030108
	buffer_load_dwordx4 a[136:139], v44, s[12:15], 0 offen     // 00000000A8D4: E05C1000 8083882C
	v_mfma_f32_16x16x32_fp8_fp8 v[208:211], a[10:11], v[130:131], v[208:211]// 00000000A8DC: D3F300D0 0F43050A
	ds_read_b32 v72, v4 offset:27392                           // 00000000A8E4: D86C6B00 48000004
	ds_read_b32 v73, v4 offset:31744                           // 00000000A8EC: D86C7C00 49000004
	v_mfma_f32_16x16x32_fp8_fp8 v[212:215], a[8:9], v[160:161], 0// 00000000A8F4: D3F300D4 0A034108
	v_mfma_f32_16x16x32_fp8_fp8 v[212:215], a[10:11], v[162:163], v[212:215]// 00000000A8FC: D3F300D4 0F53450A
	ds_read_b32 v74, v4 offset:27424                           // 00000000A904: D86C6B20 4A000004
	ds_read_b32 v75, v4 offset:31776                           // 00000000A90C: D86C7C20 4B000004
	v_mfma_f32_16x16x32_fp8_fp8 v[216:219], a[12:13], v[128:129], 0// 00000000A914: D3F300D8 0A03010C
	buffer_load_dwordx4 a[140:143], v45, s[12:15], 0 offen     // 00000000A91C: E05C1000 80838C2D
	s_add_u32 s12, s78, s12                                    // 00000000A924: 800C0C4E
	s_addc_u32 s13, 0, s13                                     // 00000000A928: 820D0D80
	v_mfma_f32_16x16x32_fp8_fp8 v[216:219], a[14:15], v[130:131], v[216:219]// 00000000A92C: D3F300D8 0F63050E
	ds_read_b32 v76, v4 offset:27456                           // 00000000A934: D86C6B40 4C000004
	ds_read_b32 v77, v4 offset:31808                           // 00000000A93C: D86C7C40 4D000004
	v_mfma_f32_16x16x32_fp8_fp8 v[220:223], a[12:13], v[160:161], 0// 00000000A944: D3F300DC 0A03410C
	v_mfma_f32_16x16x32_fp8_fp8 v[220:223], a[14:15], v[162:163], v[220:223]// 00000000A94C: D3F300DC 0F73450E
	ds_read_b32 v78, v4 offset:27488                           // 00000000A954: D86C6B60 4E000004
	ds_read_b32 v79, v4 offset:31840                           // 00000000A95C: D86C7C60 4F000004
	s_waitcnt vmcnt(29)                                        // 00000000A964: BF8C4F7D
	v_mfma_f32_16x16x32_fp8_fp8 v[192:195], a[16:17], v[132:133], v[192:195]// 00000000A968: D3F300C0 0F030910
	buffer_load_dwordx4 a[144:147], v42, s[12:15], 0 offen     // 00000000A970: E05C1000 8083902A
	v_mfma_f32_16x16x32_fp8_fp8 v[192:195], a[18:19], v[134:135], v[192:195]// 00000000A978: D3F300C0 0F030D12
	v_mfma_f32_16x16x32_fp8_fp8 v[196:199], a[16:17], v[164:165], v[196:199]// 00000000A980: D3F300C4 0F134910
	v_mfma_f32_16x16x32_fp8_fp8 v[196:199], a[18:19], v[166:167], v[196:199]// 00000000A988: D3F300C4 0F134D12
	v_mfma_f32_16x16x32_fp8_fp8 v[200:203], a[20:21], v[132:133], v[200:203]// 00000000A990: D3F300C8 0F230914
	buffer_load_dwordx4 a[148:151], v43, s[12:15], 0 offen     // 00000000A998: E05C1000 8083942B
	v_mfma_f32_16x16x32_fp8_fp8 v[200:203], a[22:23], v[134:135], v[200:203]// 00000000A9A0: D3F300C8 0F230D16
	v_mfma_f32_16x16x32_fp8_fp8 v[204:207], a[20:21], v[164:165], v[204:207]// 00000000A9A8: D3F300CC 0F334914
	v_mfma_f32_16x16x32_fp8_fp8 v[204:207], a[22:23], v[166:167], v[204:207]// 00000000A9B0: D3F300CC 0F334D16
	v_mfma_f32_16x16x32_fp8_fp8 v[208:211], a[24:25], v[132:133], v[208:211]// 00000000A9B8: D3F300D0 0F430918
	buffer_load_dwordx4 a[152:155], v44, s[12:15], 0 offen     // 00000000A9C0: E05C1000 8083982C
	v_mfma_f32_16x16x32_fp8_fp8 v[208:211], a[26:27], v[134:135], v[208:211]// 00000000A9C8: D3F300D0 0F430D1A
	v_mfma_f32_16x16x32_fp8_fp8 v[212:215], a[24:25], v[164:165], v[212:215]// 00000000A9D0: D3F300D4 0F534918
	v_mfma_f32_16x16x32_fp8_fp8 v[212:215], a[26:27], v[166:167], v[212:215]// 00000000A9D8: D3F300D4 0F534D1A
	v_mfma_f32_16x16x32_fp8_fp8 v[216:219], a[28:29], v[132:133], v[216:219]// 00000000A9E0: D3F300D8 0F63091C
	buffer_load_dwordx4 a[156:159], v45, s[12:15], 0 offen     // 00000000A9E8: E05C1000 80839C2D
	s_add_u32 s12, s78, s12                                    // 00000000A9F0: 800C0C4E
	s_addc_u32 s13, 0, s13                                     // 00000000A9F4: 820D0D80
	v_mfma_f32_16x16x32_fp8_fp8 v[216:219], a[30:31], v[134:135], v[216:219]// 00000000A9F8: D3F300D8 0F630D1E
	v_mfma_f32_16x16x32_fp8_fp8 v[220:223], a[28:29], v[164:165], v[220:223]// 00000000AA00: D3F300DC 0F73491C
	v_mfma_f32_16x16x32_fp8_fp8 v[220:223], a[30:31], v[166:167], v[220:223]// 00000000AA08: D3F300DC 0F734D1E
	s_waitcnt vmcnt(29)                                        // 00000000AA10: BF8C4F7D
	v_mfma_f32_16x16x32_fp8_fp8 v[192:195], a[32:33], v[136:137], v[192:195]// 00000000AA14: D3F300C0 0F031120
	buffer_load_dwordx4 a[160:163], v42, s[12:15], 0 offen     // 00000000AA1C: E05C1000 8083A02A
	v_mfma_f32_16x16x32_fp8_fp8 v[192:195], a[34:35], v[138:139], v[192:195]// 00000000AA24: D3F300C0 0F031522
	ds_write_b64 v3, v[224:225] offset:36096                   // 00000000AA2C: D89A8D00 0000E003
	v_mfma_f32_16x16x32_fp8_fp8 v[196:199], a[32:33], v[168:169], v[196:199]// 00000000AA34: D3F300C4 0F135120
	v_mfma_f32_16x16x32_fp8_fp8 v[196:199], a[34:35], v[170:171], v[196:199]// 00000000AA3C: D3F300C4 0F135522
	ds_write_b64 v3, v[226:227] offset:44800                   // 00000000AA44: D89AAF00 0000E203
	v_mfma_f32_16x16x32_fp8_fp8 v[200:203], a[36:37], v[136:137], v[200:203]// 00000000AA4C: D3F300C8 0F231124
	buffer_load_dwordx4 a[164:167], v43, s[12:15], 0 offen     // 00000000AA54: E05C1000 8083A42B
	v_mfma_f32_16x16x32_fp8_fp8 v[200:203], a[38:39], v[138:139], v[200:203]// 00000000AA5C: D3F300C8 0F231526
	ds_write_b64 v3, v[228:229] offset:38272                   // 00000000AA64: D89A9580 0000E403
	v_mfma_f32_16x16x32_fp8_fp8 v[204:207], a[36:37], v[168:169], v[204:207]// 00000000AA6C: D3F300CC 0F335124
	v_mfma_f32_16x16x32_fp8_fp8 v[204:207], a[38:39], v[170:171], v[204:207]// 00000000AA74: D3F300CC 0F335526
	ds_write_b64 v3, v[230:231] offset:46976                   // 00000000AA7C: D89AB780 0000E603
	v_mfma_f32_16x16x32_fp8_fp8 v[208:211], a[40:41], v[136:137], v[208:211]// 00000000AA84: D3F300D0 0F431128
	buffer_load_dwordx4 a[168:171], v44, s[12:15], 0 offen     // 00000000AA8C: E05C1000 8083A82C
	v_mfma_f32_16x16x32_fp8_fp8 v[208:211], a[42:43], v[138:139], v[208:211]// 00000000AA94: D3F300D0 0F43152A
	ds_write_b64 v3, v[232:233] offset:40448                   // 00000000AA9C: D89A9E00 0000E803
	v_mfma_f32_16x16x32_fp8_fp8 v[212:215], a[40:41], v[168:169], v[212:215]// 00000000AAA4: D3F300D4 0F535128
	v_mfma_f32_16x16x32_fp8_fp8 v[212:215], a[42:43], v[170:171], v[212:215]// 00000000AAAC: D3F300D4 0F53552A
	ds_write_b64 v3, v[234:235] offset:49152                   // 00000000AAB4: D89AC000 0000EA03
	v_mfma_f32_16x16x32_fp8_fp8 v[216:219], a[44:45], v[136:137], v[216:219]// 00000000AABC: D3F300D8 0F63112C
	buffer_load_dwordx4 a[172:175], v45, s[12:15], 0 offen     // 00000000AAC4: E05C1000 8083AC2D
	s_add_u32 s12, s78, s12                                    // 00000000AACC: 800C0C4E
	s_addc_u32 s13, 0, s13                                     // 00000000AAD0: 820D0D80
	v_mfma_f32_16x16x32_fp8_fp8 v[216:219], a[46:47], v[138:139], v[216:219]// 00000000AAD4: D3F300D8 0F63152E
	ds_write_b64 v3, v[236:237] offset:42624                   // 00000000AADC: D89AA680 0000EC03
	v_mfma_f32_16x16x32_fp8_fp8 v[220:223], a[44:45], v[168:169], v[220:223]// 00000000AAE4: D3F300DC 0F73512C
	v_mfma_f32_16x16x32_fp8_fp8 v[220:223], a[46:47], v[170:171], v[220:223]// 00000000AAEC: D3F300DC 0F73552E
	ds_write_b64 v3, v[238:239] offset:51328                   // 00000000AAF4: D89AC880 0000EE03
	s_waitcnt vmcnt(29)                                        // 00000000AAFC: BF8C4F7D
	v_mfma_f32_16x16x32_fp8_fp8 v[192:195], a[48:49], v[140:141], v[192:195]// 00000000AB00: D3F300C0 0F031930
	buffer_load_dwordx4 a[176:179], v42, s[12:15], 0 offen     // 00000000AB08: E05C1000 8083B02A
	v_mfma_f32_16x16x32_fp8_fp8 v[192:195], a[50:51], v[142:143], v[192:195]// 00000000AB10: D3F300C0 0F031D32
	v_mfma_f32_16x16x32_fp8_fp8 v[196:199], a[48:49], v[172:173], v[196:199]// 00000000AB18: D3F300C4 0F135930
	v_mfma_f32_16x16x32_fp8_fp8 v[196:199], a[50:51], v[174:175], v[196:199]// 00000000AB20: D3F300C4 0F135D32
	v_mfma_f32_16x16x32_fp8_fp8 v[200:203], a[52:53], v[140:141], v[200:203]// 00000000AB28: D3F300C8 0F231934
	buffer_load_dwordx4 a[180:183], v43, s[12:15], 0 offen     // 00000000AB30: E05C1000 8083B42B
	v_mfma_f32_16x16x32_fp8_fp8 v[200:203], a[54:55], v[142:143], v[200:203]// 00000000AB38: D3F300C8 0F231D36
	v_mfma_f32_16x16x32_fp8_fp8 v[204:207], a[52:53], v[172:173], v[204:207]// 00000000AB40: D3F300CC 0F335934
	v_mfma_f32_16x16x32_fp8_fp8 v[204:207], a[54:55], v[174:175], v[204:207]// 00000000AB48: D3F300CC 0F335D36
	v_mfma_f32_16x16x32_fp8_fp8 v[208:211], a[56:57], v[140:141], v[208:211]// 00000000AB50: D3F300D0 0F431938
	buffer_load_dwordx4 a[184:187], v44, s[12:15], 0 offen     // 00000000AB58: E05C1000 8083B82C
	v_mfma_f32_16x16x32_fp8_fp8 v[208:211], a[58:59], v[142:143], v[208:211]// 00000000AB60: D3F300D0 0F431D3A
	v_mfma_f32_16x16x32_fp8_fp8 v[212:215], a[56:57], v[172:173], v[212:215]// 00000000AB68: D3F300D4 0F535938
	v_mfma_f32_16x16x32_fp8_fp8 v[212:215], a[58:59], v[174:175], v[212:215]// 00000000AB70: D3F300D4 0F535D3A
	v_mfma_f32_16x16x32_fp8_fp8 v[216:219], a[60:61], v[140:141], v[216:219]// 00000000AB78: D3F300D8 0F63193C
	buffer_load_dwordx4 a[188:191], v45, s[12:15], 0 offen     // 00000000AB80: E05C1000 8083BC2D
	s_add_u32 s12, s78, s12                                    // 00000000AB88: 800C0C4E
	s_addc_u32 s13, 0, s13                                     // 00000000AB8C: 820D0D80
	v_mfma_f32_16x16x32_fp8_fp8 v[216:219], a[62:63], v[142:143], v[216:219]// 00000000AB90: D3F300D8 0F631D3E
	v_mfma_f32_16x16x32_fp8_fp8 v[220:223], a[60:61], v[172:173], v[220:223]// 00000000AB98: D3F300DC 0F73593C
	v_mfma_f32_16x16x32_fp8_fp8 v[220:223], a[62:63], v[174:175], v[220:223]// 00000000ABA0: D3F300DC 0F735D3E
	s_waitcnt vmcnt(29)                                        // 00000000ABA8: BF8C4F7D
	v_mfma_f32_16x16x32_fp8_fp8 v[192:195], a[64:65], v[144:145], v[192:195]// 00000000ABAC: D3F300C0 0F032140
	buffer_load_dwordx4 a[192:195], v42, s[12:15], 0 offen     // 00000000ABB4: E05C1000 8083C02A
	v_mfma_f32_16x16x32_fp8_fp8 v[192:195], a[66:67], v[146:147], v[192:195]// 00000000ABBC: D3F300C0 0F032542
	v_mfma_f32_16x16x32_fp8_fp8 v[196:199], a[64:65], v[176:177], v[196:199]// 00000000ABC4: D3F300C4 0F136140
	v_mfma_f32_16x16x32_fp8_fp8 v[196:199], a[66:67], v[178:179], v[196:199]// 00000000ABCC: D3F300C4 0F136542
	v_mfma_f32_16x16x32_fp8_fp8 v[200:203], a[68:69], v[144:145], v[200:203]// 00000000ABD4: D3F300C8 0F232144
	buffer_load_dwordx4 a[196:199], v43, s[12:15], 0 offen     // 00000000ABDC: E05C1000 8083C42B
	v_mfma_f32_16x16x32_fp8_fp8 v[200:203], a[70:71], v[146:147], v[200:203]// 00000000ABE4: D3F300C8 0F232546
	v_mfma_f32_16x16x32_fp8_fp8 v[204:207], a[68:69], v[176:177], v[204:207]// 00000000ABEC: D3F300CC 0F336144
	v_mfma_f32_16x16x32_fp8_fp8 v[204:207], a[70:71], v[178:179], v[204:207]// 00000000ABF4: D3F300CC 0F336546
	v_mfma_f32_16x16x32_fp8_fp8 v[208:211], a[72:73], v[144:145], v[208:211]// 00000000ABFC: D3F300D0 0F432148
	buffer_load_dwordx4 a[200:203], v44, s[12:15], 0 offen     // 00000000AC04: E05C1000 8083C82C
	v_mfma_f32_16x16x32_fp8_fp8 v[208:211], a[74:75], v[146:147], v[208:211]// 00000000AC0C: D3F300D0 0F43254A
	v_mfma_f32_16x16x32_fp8_fp8 v[212:215], a[72:73], v[176:177], v[212:215]// 00000000AC14: D3F300D4 0F536148
	v_mfma_f32_16x16x32_fp8_fp8 v[212:215], a[74:75], v[178:179], v[212:215]// 00000000AC1C: D3F300D4 0F53654A
	v_mfma_f32_16x16x32_fp8_fp8 v[216:219], a[76:77], v[144:145], v[216:219]// 00000000AC24: D3F300D8 0F63214C
	buffer_load_dwordx4 a[204:207], v45, s[12:15], 0 offen     // 00000000AC2C: E05C1000 8083CC2D
	s_add_u32 s12, s78, s12                                    // 00000000AC34: 800C0C4E
	s_addc_u32 s13, 0, s13                                     // 00000000AC38: 820D0D80
	v_mfma_f32_16x16x32_fp8_fp8 v[216:219], a[78:79], v[146:147], v[216:219]// 00000000AC3C: D3F300D8 0F63254E
	v_mfma_f32_16x16x32_fp8_fp8 v[220:223], a[76:77], v[176:177], v[220:223]// 00000000AC44: D3F300DC 0F73614C
	v_mfma_f32_16x16x32_fp8_fp8 v[220:223], a[78:79], v[178:179], v[220:223]// 00000000AC4C: D3F300DC 0F73654E
	s_waitcnt vmcnt(29)                                        // 00000000AC54: BF8C4F7D
	v_mfma_f32_16x16x32_fp8_fp8 v[192:195], a[80:81], v[148:149], v[192:195]// 00000000AC58: D3F300C0 0F032950
	buffer_load_dwordx4 a[208:211], v42, s[12:15], 0 offen     // 00000000AC60: E05C1000 8083D02A
	v_mfma_f32_16x16x32_fp8_fp8 v[192:195], a[82:83], v[150:151], v[192:195]// 00000000AC68: D3F300C0 0F032D52
	v_mfma_f32_16x16x32_fp8_fp8 v[196:199], a[80:81], v[180:181], v[196:199]// 00000000AC70: D3F300C4 0F136950
	v_mfma_f32_16x16x32_fp8_fp8 v[196:199], a[82:83], v[182:183], v[196:199]// 00000000AC78: D3F300C4 0F136D52
	v_mfma_f32_16x16x32_fp8_fp8 v[200:203], a[84:85], v[148:149], v[200:203]// 00000000AC80: D3F300C8 0F232954
	buffer_load_dwordx4 a[212:215], v43, s[12:15], 0 offen     // 00000000AC88: E05C1000 8083D42B
	v_mfma_f32_16x16x32_fp8_fp8 v[200:203], a[86:87], v[150:151], v[200:203]// 00000000AC90: D3F300C8 0F232D56
	v_mfma_f32_16x16x32_fp8_fp8 v[204:207], a[84:85], v[180:181], v[204:207]// 00000000AC98: D3F300CC 0F336954
	v_mfma_f32_16x16x32_fp8_fp8 v[204:207], a[86:87], v[182:183], v[204:207]// 00000000ACA0: D3F300CC 0F336D56
	v_mfma_f32_16x16x32_fp8_fp8 v[208:211], a[88:89], v[148:149], v[208:211]// 00000000ACA8: D3F300D0 0F432958
	buffer_load_dwordx4 a[216:219], v44, s[12:15], 0 offen     // 00000000ACB0: E05C1000 8083D82C
	v_mfma_f32_16x16x32_fp8_fp8 v[208:211], a[90:91], v[150:151], v[208:211]// 00000000ACB8: D3F300D0 0F432D5A
	v_mfma_f32_16x16x32_fp8_fp8 v[212:215], a[88:89], v[180:181], v[212:215]// 00000000ACC0: D3F300D4 0F536958
	v_mfma_f32_16x16x32_fp8_fp8 v[212:215], a[90:91], v[182:183], v[212:215]// 00000000ACC8: D3F300D4 0F536D5A
	v_mfma_f32_16x16x32_fp8_fp8 v[216:219], a[92:93], v[148:149], v[216:219]// 00000000ACD0: D3F300D8 0F63295C
	buffer_load_dwordx4 a[220:223], v45, s[12:15], 0 offen     // 00000000ACD8: E05C1000 8083DC2D
	s_add_u32 s12, s78, s12                                    // 00000000ACE0: 800C0C4E
	s_addc_u32 s13, 0, s13                                     // 00000000ACE4: 820D0D80
	v_mfma_f32_16x16x32_fp8_fp8 v[216:219], a[94:95], v[150:151], v[216:219]// 00000000ACE8: D3F300D8 0F632D5E
	v_mfma_f32_16x16x32_fp8_fp8 v[220:223], a[92:93], v[180:181], v[220:223]// 00000000ACF0: D3F300DC 0F73695C
	v_mfma_f32_16x16x32_fp8_fp8 v[220:223], a[94:95], v[182:183], v[220:223]// 00000000ACF8: D3F300DC 0F736D5E
	s_waitcnt vmcnt(29)                                        // 00000000AD00: BF8C4F7D
	v_mfma_f32_16x16x32_fp8_fp8 v[192:195], a[96:97], v[152:153], v[192:195]// 00000000AD04: D3F300C0 0F033160
	buffer_load_dwordx4 a[224:227], v42, s[12:15], 0 offen     // 00000000AD0C: E05C1000 8083E02A
	v_mfma_f32_16x16x32_fp8_fp8 v[192:195], a[98:99], v[154:155], v[192:195]// 00000000AD14: D3F300C0 0F033562
	v_mfma_f32_16x16x32_fp8_fp8 v[196:199], a[96:97], v[184:185], v[196:199]// 00000000AD1C: D3F300C4 0F137160
	v_mfma_f32_16x16x32_fp8_fp8 v[196:199], a[98:99], v[186:187], v[196:199]// 00000000AD24: D3F300C4 0F137562
	v_mfma_f32_16x16x32_fp8_fp8 v[200:203], a[100:101], v[152:153], v[200:203]// 00000000AD2C: D3F300C8 0F233164
	buffer_load_dwordx4 a[228:231], v43, s[12:15], 0 offen     // 00000000AD34: E05C1000 8083E42B
	v_mfma_f32_16x16x32_fp8_fp8 v[200:203], a[102:103], v[154:155], v[200:203]// 00000000AD3C: D3F300C8 0F233566
	v_mfma_f32_16x16x32_fp8_fp8 v[204:207], a[100:101], v[184:185], v[204:207]// 00000000AD44: D3F300CC 0F337164
	v_mfma_f32_16x16x32_fp8_fp8 v[204:207], a[102:103], v[186:187], v[204:207]// 00000000AD4C: D3F300CC 0F337566
	v_mfma_f32_16x16x32_fp8_fp8 v[208:211], a[104:105], v[152:153], v[208:211]// 00000000AD54: D3F300D0 0F433168
	buffer_load_dwordx4 a[232:235], v44, s[12:15], 0 offen     // 00000000AD5C: E05C1000 8083E82C
	v_mfma_f32_16x16x32_fp8_fp8 v[208:211], a[106:107], v[154:155], v[208:211]// 00000000AD64: D3F300D0 0F43356A
	v_mfma_f32_16x16x32_fp8_fp8 v[212:215], a[104:105], v[184:185], v[212:215]// 00000000AD6C: D3F300D4 0F537168
	v_mfma_f32_16x16x32_fp8_fp8 v[212:215], a[106:107], v[186:187], v[212:215]// 00000000AD74: D3F300D4 0F53756A
	v_mfma_f32_16x16x32_fp8_fp8 v[216:219], a[108:109], v[152:153], v[216:219]// 00000000AD7C: D3F300D8 0F63316C
	buffer_load_dwordx4 a[236:239], v45, s[12:15], 0 offen     // 00000000AD84: E05C1000 8083EC2D
	s_add_u32 s12, s78, s12                                    // 00000000AD8C: 800C0C4E
	s_addc_u32 s13, 0, s13                                     // 00000000AD90: 820D0D80
	v_mfma_f32_16x16x32_fp8_fp8 v[216:219], a[110:111], v[154:155], v[216:219]// 00000000AD94: D3F300D8 0F63356E
	v_mfma_f32_16x16x32_fp8_fp8 v[220:223], a[108:109], v[184:185], v[220:223]// 00000000AD9C: D3F300DC 0F73716C
	v_mfma_f32_16x16x32_fp8_fp8 v[220:223], a[110:111], v[186:187], v[220:223]// 00000000ADA4: D3F300DC 0F73756E
	s_waitcnt vmcnt(28)                                        // 00000000ADAC: BF8C4F7C
	v_mfma_f32_16x16x32_fp8_fp8 v[192:195], a[112:113], v[156:157], v[192:195]// 00000000ADB0: D3F300C0 0F033970
	buffer_load_dwordx4 a[240:243], v42, s[12:15], 0 offen     // 00000000ADB8: E05C1000 8083F02A
	v_mfma_f32_16x16x32_fp8_fp8 v[192:195], a[114:115], v[158:159], v[192:195]// 00000000ADC0: D3F300C0 0F033D72
	v_mfma_f32_16x16x32_fp8_fp8 v[196:199], a[112:113], v[188:189], v[196:199]// 00000000ADC8: D3F300C4 0F137970
	buffer_load_dword v13, v5, s[16:19], 0 offen               // 00000000ADD0: E0501000 80040D05
	v_mfma_f32_16x16x32_fp8_fp8 v[196:199], a[114:115], v[190:191], v[196:199]// 00000000ADD8: D3F300C4 0F137D72
	v_mfma_f32_16x16x32_fp8_fp8 v[200:203], a[116:117], v[156:157], v[200:203]// 00000000ADE0: D3F300C8 0F233974
	buffer_load_dwordx4 a[244:247], v43, s[12:15], 0 offen     // 00000000ADE8: E05C1000 8083F42B
	v_mfma_f32_16x16x32_fp8_fp8 v[200:203], a[118:119], v[158:159], v[200:203]// 00000000ADF0: D3F300C8 0F233D76
	v_mfma_f32_16x16x32_fp8_fp8 v[204:207], a[116:117], v[188:189], v[204:207]// 00000000ADF8: D3F300CC 0F337974
	v_mfma_f32_16x16x32_fp8_fp8 v[204:207], a[118:119], v[190:191], v[204:207]// 00000000AE00: D3F300CC 0F337D76
	v_mfma_f32_16x16x32_fp8_fp8 v[208:211], a[120:121], v[156:157], v[208:211]// 00000000AE08: D3F300D0 0F433978
	buffer_load_dwordx4 a[248:251], v44, s[12:15], 0 offen     // 00000000AE10: E05C1000 8083F82C
	v_mfma_f32_16x16x32_fp8_fp8 v[208:211], a[122:123], v[158:159], v[208:211]// 00000000AE18: D3F300D0 0F433D7A
	v_mfma_f32_16x16x32_fp8_fp8 v[212:215], a[120:121], v[188:189], v[212:215]// 00000000AE20: D3F300D4 0F537978
	v_mfma_f32_16x16x32_fp8_fp8 v[212:215], a[122:123], v[190:191], v[212:215]// 00000000AE28: D3F300D4 0F537D7A
	v_mfma_f32_16x16x32_fp8_fp8 v[216:219], a[124:125], v[156:157], v[216:219]// 00000000AE30: D3F300D8 0F63397C
	buffer_load_dwordx4 a[252:255], v45, s[12:15], 0 offen     // 00000000AE38: E05C1000 8083FC2D
	v_mfma_f32_16x16x32_fp8_fp8 v[216:219], a[126:127], v[158:159], v[216:219]// 00000000AE40: D3F300D8 0F633D7E
	v_mfma_f32_16x16x32_fp8_fp8 v[220:223], a[124:125], v[188:189], v[220:223]// 00000000AE48: D3F300DC 0F73797C
	v_mfma_f32_16x16x32_fp8_fp8 v[220:223], a[126:127], v[190:191], v[220:223]// 00000000AE50: D3F300DC 0F737D7E
	s_add_u32 s60, 0x200, s80                                  // 00000000AE58: 803C50FF 00000200
	s_cmp_lt_u32 s60, s81                                      // 00000000AE60: BF0A513C
	s_cselect_b32 s56, s56, 0                                  // 00000000AE64: 85388038
	s_cselect_b32 s78, s78, 0                                  // 00000000AE68: 854E804E
	s_cselect_b32 s79, s79, 0                                  // 00000000AE6C: 854F804F
	s_add_u32 s12, s56, s12                                    // 00000000AE70: 800C0C38
	s_addc_u32 s13, 0, s13                                     // 00000000AE74: 820D0D80
	s_add_u32 s16, s79, s16                                    // 00000000AE78: 8010104F
	s_addc_u32 s17, 0, s17                                     // 00000000AE7C: 82111180
	v_mul_f32_e32 v192, v24, v192                              // 00000000AE80: 0B818118
	v_mul_f32_e32 v193, v24, v193                              // 00000000AE84: 0B838318
	v_mul_f32_e32 v194, v24, v194                              // 00000000AE88: 0B858518
	v_mul_f32_e32 v195, v24, v195                              // 00000000AE8C: 0B878718
	v_mul_f32_dpp v192, v12, v192 row_newbcast:0 row_mask:0xf bank_mask:0xf// 00000000AE90: 0B8180FA FF01500C
	v_mul_f32_dpp v193, v12, v193 row_newbcast:1 row_mask:0xf bank_mask:0xf// 00000000AE98: 0B8382FA FF01510C
	v_mul_f32_dpp v194, v12, v194 row_newbcast:2 row_mask:0xf bank_mask:0xf// 00000000AEA0: 0B8584FA FF01520C
	v_mul_f32_dpp v195, v12, v195 row_newbcast:3 row_mask:0xf bank_mask:0xf// 00000000AEA8: 0B8786FA FF01530C
	v_mul_f32_e32 v192, v20, v192                              // 00000000AEB0: 0B818114
	v_mul_f32_e32 v193, v20, v193                              // 00000000AEB4: 0B838314
	v_mul_f32_e32 v194, v20, v194                              // 00000000AEB8: 0B858514
	v_mul_f32_e32 v195, v20, v195                              // 00000000AEBC: 0B878714
	v_mul_f32_e32 v196, v25, v196                              // 00000000AEC0: 0B898919
	v_mul_f32_e32 v197, v25, v197                              // 00000000AEC4: 0B8B8B19
	v_mul_f32_e32 v198, v25, v198                              // 00000000AEC8: 0B8D8D19
	v_mul_f32_e32 v199, v25, v199                              // 00000000AECC: 0B8F8F19
	v_mul_f32_dpp v196, v12, v196 row_newbcast:0 row_mask:0xf bank_mask:0xf// 00000000AED0: 0B8988FA FF01500C
	v_mul_f32_dpp v197, v12, v197 row_newbcast:1 row_mask:0xf bank_mask:0xf// 00000000AED8: 0B8B8AFA FF01510C
	v_mul_f32_dpp v198, v12, v198 row_newbcast:2 row_mask:0xf bank_mask:0xf// 00000000AEE0: 0B8D8CFA FF01520C
	v_mul_f32_dpp v199, v12, v199 row_newbcast:3 row_mask:0xf bank_mask:0xf// 00000000AEE8: 0B8F8EFA FF01530C
	v_mul_f32_e32 v196, v21, v196                              // 00000000AEF0: 0B898915
	v_mul_f32_e32 v197, v21, v197                              // 00000000AEF4: 0B8B8B15
	v_mul_f32_e32 v198, v21, v198                              // 00000000AEF8: 0B8D8D15
	v_mul_f32_e32 v199, v21, v199                              // 00000000AEFC: 0B8F8F15
	v_mul_f32_e32 v200, v24, v200                              // 00000000AF00: 0B919118
	v_mul_f32_e32 v201, v24, v201                              // 00000000AF04: 0B939318
	v_mul_f32_e32 v202, v24, v202                              // 00000000AF08: 0B959518
	v_mul_f32_e32 v203, v24, v203                              // 00000000AF0C: 0B979718
	v_mul_f32_dpp v200, v12, v200 row_newbcast:4 row_mask:0xf bank_mask:0xf// 00000000AF10: 0B9190FA FF01540C
	v_mul_f32_dpp v201, v12, v201 row_newbcast:5 row_mask:0xf bank_mask:0xf// 00000000AF18: 0B9392FA FF01550C
	v_mul_f32_dpp v202, v12, v202 row_newbcast:6 row_mask:0xf bank_mask:0xf// 00000000AF20: 0B9594FA FF01560C
	v_mul_f32_dpp v203, v12, v203 row_newbcast:7 row_mask:0xf bank_mask:0xf// 00000000AF28: 0B9796FA FF01570C
	v_mul_f32_e32 v200, v20, v200                              // 00000000AF30: 0B919114
	v_mul_f32_e32 v201, v20, v201                              // 00000000AF34: 0B939314
	v_mul_f32_e32 v202, v20, v202                              // 00000000AF38: 0B959514
	v_mul_f32_e32 v203, v20, v203                              // 00000000AF3C: 0B979714
	v_mul_f32_e32 v204, v25, v204                              // 00000000AF40: 0B999919
	v_mul_f32_e32 v205, v25, v205                              // 00000000AF44: 0B9B9B19
	v_mul_f32_e32 v206, v25, v206                              // 00000000AF48: 0B9D9D19
	v_mul_f32_e32 v207, v25, v207                              // 00000000AF4C: 0B9F9F19
	v_mul_f32_dpp v204, v12, v204 row_newbcast:4 row_mask:0xf bank_mask:0xf// 00000000AF50: 0B9998FA FF01540C
	v_mul_f32_dpp v205, v12, v205 row_newbcast:5 row_mask:0xf bank_mask:0xf// 00000000AF58: 0B9B9AFA FF01550C
	v_mul_f32_dpp v206, v12, v206 row_newbcast:6 row_mask:0xf bank_mask:0xf// 00000000AF60: 0B9D9CFA FF01560C
	v_mul_f32_dpp v207, v12, v207 row_newbcast:7 row_mask:0xf bank_mask:0xf// 00000000AF68: 0B9F9EFA FF01570C
	v_mul_f32_e32 v204, v21, v204                              // 00000000AF70: 0B999915
	v_mul_f32_e32 v205, v21, v205                              // 00000000AF74: 0B9B9B15
	v_mul_f32_e32 v206, v21, v206                              // 00000000AF78: 0B9D9D15
	v_mul_f32_e32 v207, v21, v207                              // 00000000AF7C: 0B9F9F15
	v_mul_f32_e32 v208, v24, v208                              // 00000000AF80: 0BA1A118
	v_mul_f32_e32 v209, v24, v209                              // 00000000AF84: 0BA3A318
	v_mul_f32_e32 v210, v24, v210                              // 00000000AF88: 0BA5A518
	v_mul_f32_e32 v211, v24, v211                              // 00000000AF8C: 0BA7A718
	v_mul_f32_dpp v208, v12, v208 row_newbcast:8 row_mask:0xf bank_mask:0xf// 00000000AF90: 0BA1A0FA FF01580C
	v_mul_f32_dpp v209, v12, v209 row_newbcast:9 row_mask:0xf bank_mask:0xf// 00000000AF98: 0BA3A2FA FF01590C
	v_mul_f32_dpp v210, v12, v210 row_newbcast:10 row_mask:0xf bank_mask:0xf// 00000000AFA0: 0BA5A4FA FF015A0C
	v_mul_f32_dpp v211, v12, v211 row_newbcast:11 row_mask:0xf bank_mask:0xf// 00000000AFA8: 0BA7A6FA FF015B0C
	v_mul_f32_e32 v208, v20, v208                              // 00000000AFB0: 0BA1A114
	v_mul_f32_e32 v209, v20, v209                              // 00000000AFB4: 0BA3A314
	v_mul_f32_e32 v210, v20, v210                              // 00000000AFB8: 0BA5A514
	v_mul_f32_e32 v211, v20, v211                              // 00000000AFBC: 0BA7A714
	v_mul_f32_e32 v212, v25, v212                              // 00000000AFC0: 0BA9A919
	v_mul_f32_e32 v213, v25, v213                              // 00000000AFC4: 0BABAB19
	v_mul_f32_e32 v214, v25, v214                              // 00000000AFC8: 0BADAD19
	v_mul_f32_e32 v215, v25, v215                              // 00000000AFCC: 0BAFAF19
	v_mul_f32_dpp v212, v12, v212 row_newbcast:8 row_mask:0xf bank_mask:0xf// 00000000AFD0: 0BA9A8FA FF01580C
	v_mul_f32_dpp v213, v12, v213 row_newbcast:9 row_mask:0xf bank_mask:0xf// 00000000AFD8: 0BABAAFA FF01590C
	v_mul_f32_dpp v214, v12, v214 row_newbcast:10 row_mask:0xf bank_mask:0xf// 00000000AFE0: 0BADACFA FF015A0C
	v_mul_f32_dpp v215, v12, v215 row_newbcast:11 row_mask:0xf bank_mask:0xf// 00000000AFE8: 0BAFAEFA FF015B0C
	v_mul_f32_e32 v212, v21, v212                              // 00000000AFF0: 0BA9A915
	v_mul_f32_e32 v213, v21, v213                              // 00000000AFF4: 0BABAB15
	v_mul_f32_e32 v214, v21, v214                              // 00000000AFF8: 0BADAD15
	v_mul_f32_e32 v215, v21, v215                              // 00000000AFFC: 0BAFAF15
	v_mul_f32_e32 v216, v24, v216                              // 00000000B000: 0BB1B118
	v_mul_f32_e32 v217, v24, v217                              // 00000000B004: 0BB3B318
	v_mul_f32_e32 v218, v24, v218                              // 00000000B008: 0BB5B518
	v_mul_f32_e32 v219, v24, v219                              // 00000000B00C: 0BB7B718
	v_mul_f32_dpp v216, v12, v216 row_newbcast:12 row_mask:0xf bank_mask:0xf// 00000000B010: 0BB1B0FA FF015C0C
	v_mul_f32_dpp v217, v12, v217 row_newbcast:13 row_mask:0xf bank_mask:0xf// 00000000B018: 0BB3B2FA FF015D0C
	v_mul_f32_dpp v218, v12, v218 row_newbcast:14 row_mask:0xf bank_mask:0xf// 00000000B020: 0BB5B4FA FF015E0C
	v_mul_f32_dpp v219, v12, v219 row_newbcast:15 row_mask:0xf bank_mask:0xf// 00000000B028: 0BB7B6FA FF015F0C
	v_mul_f32_e32 v216, v20, v216                              // 00000000B030: 0BB1B114
	v_mul_f32_e32 v217, v20, v217                              // 00000000B034: 0BB3B314
	v_mul_f32_e32 v218, v20, v218                              // 00000000B038: 0BB5B514
	v_mul_f32_e32 v219, v20, v219                              // 00000000B03C: 0BB7B714
	v_mul_f32_e32 v220, v25, v220                              // 00000000B040: 0BB9B919
	v_mul_f32_e32 v221, v25, v221                              // 00000000B044: 0BBBBB19
	v_mul_f32_e32 v222, v25, v222                              // 00000000B048: 0BBDBD19
	v_mul_f32_e32 v223, v25, v223                              // 00000000B04C: 0BBFBF19
	v_mul_f32_dpp v220, v12, v220 row_newbcast:12 row_mask:0xf bank_mask:0xf// 00000000B050: 0BB9B8FA FF015C0C
	v_mul_f32_dpp v221, v12, v221 row_newbcast:13 row_mask:0xf bank_mask:0xf// 00000000B058: 0BBBBAFA FF015D0C
	v_mul_f32_dpp v222, v12, v222 row_newbcast:14 row_mask:0xf bank_mask:0xf// 00000000B060: 0BBDBCFA FF015E0C
	v_mul_f32_dpp v223, v12, v223 row_newbcast:15 row_mask:0xf bank_mask:0xf// 00000000B068: 0BBFBEFA FF015F0C
	v_mul_f32_e32 v220, v21, v220                              // 00000000B070: 0BB9B915
	v_mul_f32_e32 v221, v21, v221                              // 00000000B074: 0BBBBB15
	v_mul_f32_e32 v222, v21, v222                              // 00000000B078: 0BBDBD15
	v_mul_f32_e32 v223, v21, v223                              // 00000000B07C: 0BBFBF15
	v_cvt_pkrtz_f16_f32 v192, v192, v193                       // 00000000B080: D29600C0 000383C0
	v_cvt_pkrtz_f16_f32 v193, v194, v195                       // 00000000B088: D29600C1 000387C2
	v_cvt_pkrtz_f16_f32 v194, v196, v197                       // 00000000B090: D29600C2 00038BC4
	v_cvt_pkrtz_f16_f32 v195, v198, v199                       // 00000000B098: D29600C3 00038FC6
	v_cvt_pkrtz_f16_f32 v196, v200, v201                       // 00000000B0A0: D29600C4 000393C8
	v_cvt_pkrtz_f16_f32 v197, v202, v203                       // 00000000B0A8: D29600C5 000397CA
	v_cvt_pkrtz_f16_f32 v198, v204, v205                       // 00000000B0B0: D29600C6 00039BCC
	v_cvt_pkrtz_f16_f32 v199, v206, v207                       // 00000000B0B8: D29600C7 00039FCE
	v_cvt_pkrtz_f16_f32 v200, v208, v209                       // 00000000B0C0: D29600C8 0003A3D0
	v_cvt_pkrtz_f16_f32 v201, v210, v211                       // 00000000B0C8: D29600C9 0003A7D2
	v_cvt_pkrtz_f16_f32 v202, v212, v213                       // 00000000B0D0: D29600CA 0003ABD4
	v_cvt_pkrtz_f16_f32 v203, v214, v215                       // 00000000B0D8: D29600CB 0003AFD6
	v_cvt_pkrtz_f16_f32 v204, v216, v217                       // 00000000B0E0: D29600CC 0003B3D8
	v_cvt_pkrtz_f16_f32 v205, v218, v219                       // 00000000B0E8: D29600CD 0003B7DA
	v_cvt_pkrtz_f16_f32 v206, v220, v221                       // 00000000B0F0: D29600CE 0003BBDC
	v_cvt_pkrtz_f16_f32 v207, v222, v223                       // 00000000B0F8: D29600CF 0003BFDE
	s_cmp_ge_u32 s80, 0x200                                    // 00000000B100: BF09FF50 00000200
	s_cselect_b32 s59, 0x200, s59                              // 00000000B108: 853B3BFF 00000200
	s_setvskip s20, 0                                          // 00000000B110: BF108014
	global_atomic_pk_add_f16 v80, v64, s[8:9]                  // 00000000B114: DD388000 00084050
	s_setvskip 0, 0                                            // 00000000B11C: BF108080
	s_setvskip s20, 0                                          // 00000000B120: BF108014
	global_atomic_pk_add_f16 v80, v65, s[8:9] offset:256       // 00000000B124: DD388100 00084150
	s_setvskip 0, 0                                            // 00000000B12C: BF108080
	s_setvskip s20, 1                                          // 00000000B130: BF108114
	global_atomic_pk_add_f16 v82, v66, s[8:9]                  // 00000000B134: DD388000 00084252
	s_setvskip 0, 0                                            // 00000000B13C: BF108080
	s_setvskip s20, 1                                          // 00000000B140: BF108114
	global_atomic_pk_add_f16 v82, v67, s[8:9] offset:256       // 00000000B144: DD388100 00084352
	s_setvskip 0, 0                                            // 00000000B14C: BF108080
	s_setvskip s20, 2                                          // 00000000B150: BF108214
	global_atomic_pk_add_f16 v84, v68, s[8:9]                  // 00000000B154: DD388000 00084454
	s_setvskip 0, 0                                            // 00000000B15C: BF108080
	s_setvskip s20, 2                                          // 00000000B160: BF108214
	global_atomic_pk_add_f16 v84, v69, s[8:9] offset:256       // 00000000B164: DD388100 00084554
	s_setvskip 0, 0                                            // 00000000B16C: BF108080
	s_setvskip s20, 3                                          // 00000000B170: BF108314
	global_atomic_pk_add_f16 v86, v70, s[8:9]                  // 00000000B174: DD388000 00084656
	s_setvskip 0, 0                                            // 00000000B17C: BF108080
	s_setvskip s20, 3                                          // 00000000B180: BF108314
	global_atomic_pk_add_f16 v86, v71, s[8:9] offset:256       // 00000000B184: DD388100 00084756
	s_setvskip 0, 0                                            // 00000000B18C: BF108080
	s_setvskip s20, 4                                          // 00000000B190: BF108414
	global_atomic_pk_add_f16 v88, v72, s[8:9]                  // 00000000B194: DD388000 00084858
	s_setvskip 0, 0                                            // 00000000B19C: BF108080
	s_setvskip s20, 4                                          // 00000000B1A0: BF108414
	global_atomic_pk_add_f16 v88, v73, s[8:9] offset:256       // 00000000B1A4: DD388100 00084958
	s_setvskip 0, 0                                            // 00000000B1AC: BF108080
	s_setvskip s20, 5                                          // 00000000B1B0: BF108514
	global_atomic_pk_add_f16 v90, v74, s[8:9]                  // 00000000B1B4: DD388000 00084A5A
	s_setvskip 0, 0                                            // 00000000B1BC: BF108080
	s_setvskip s20, 5                                          // 00000000B1C0: BF108514
	global_atomic_pk_add_f16 v90, v75, s[8:9] offset:256       // 00000000B1C4: DD388100 00084B5A
	s_setvskip 0, 0                                            // 00000000B1CC: BF108080
	s_setvskip s20, 6                                          // 00000000B1D0: BF108614
	global_atomic_pk_add_f16 v92, v76, s[8:9]                  // 00000000B1D4: DD388000 00084C5C
	s_setvskip 0, 0                                            // 00000000B1DC: BF108080
	s_setvskip s20, 6                                          // 00000000B1E0: BF108614
	global_atomic_pk_add_f16 v92, v77, s[8:9] offset:256       // 00000000B1E4: DD388100 00084D5C
	s_setvskip 0, 0                                            // 00000000B1EC: BF108080
	s_setvskip s20, 7                                          // 00000000B1F0: BF108714
	global_atomic_pk_add_f16 v94, v78, s[8:9]                  // 00000000B1F4: DD388000 00084E5E
	s_setvskip 0, 0                                            // 00000000B1FC: BF108080
	s_setvskip s20, 7                                          // 00000000B200: BF108714
	global_atomic_pk_add_f16 v94, v79, s[8:9] offset:256       // 00000000B204: DD388100 00084F5E
	s_setvskip 0, 0                                            // 00000000B20C: BF108080
	s_add_u32 s8, s59, s8                                      // 00000000B210: 8008083B
	s_addc_u32 s9, 0, s9                                       // 00000000B214: 82090980
	s_addk_i32 s80, 0x100                                      // 00000000B218: B7500100
	s_cmp_lt_i32 s80, s81                                      // 00000000B21C: BF045150
	s_cbranch_scc0 label_1313                                  // 00000000B220: BF84F20A
	s_waitcnt vmcnt(29) lgkmcnt(0)                             // 00000000B224: BF8C407D
	s_barrier                                                  // 00000000B228: BF8A0000
	v_mfma_f32_16x16x32_fp8_fp8 v[224:227], a[128:129], v[128:129], 0// 00000000B22C: D3F300E0 0A030180
	buffer_load_dwordx4 a[0:3], v42, s[12:15], 0 offen         // 00000000B234: E05C1000 8083002A
	v_mfma_f32_16x16x32_fp8_fp8 v[224:227], a[130:131], v[130:131], v[224:227]// 00000000B23C: D3F300E0 0F830582
	ds_read_b32 v64, v4 offset:36096                           // 00000000B244: D86C8D00 40000004
	ds_read_b32 v65, v4 offset:40448                           // 00000000B24C: D86C9E00 41000004
	v_mfma_f32_16x16x32_fp8_fp8 v[228:231], a[128:129], v[160:161], 0// 00000000B254: D3F300E4 0A034180
	v_mfma_f32_16x16x32_fp8_fp8 v[228:231], a[130:131], v[162:163], v[228:231]// 00000000B25C: D3F300E4 0F934582
	ds_read_b32 v66, v4 offset:36128                           // 00000000B264: D86C8D20 42000004
	ds_read_b32 v67, v4 offset:40480                           // 00000000B26C: D86C9E20 43000004
	v_mfma_f32_16x16x32_fp8_fp8 v[232:235], a[132:133], v[128:129], 0// 00000000B274: D3F300E8 0A030184
	buffer_load_dwordx4 a[4:7], v43, s[12:15], 0 offen         // 00000000B27C: E05C1000 8083042B
	v_mfma_f32_16x16x32_fp8_fp8 v[232:235], a[134:135], v[130:131], v[232:235]// 00000000B284: D3F300E8 0FA30586
	ds_read_b32 v68, v4 offset:36160                           // 00000000B28C: D86C8D40 44000004
	ds_read_b32 v69, v4 offset:40512                           // 00000000B294: D86C9E40 45000004
	v_mfma_f32_16x16x32_fp8_fp8 v[236:239], a[132:133], v[160:161], 0// 00000000B29C: D3F300EC 0A034184
	v_mfma_f32_16x16x32_fp8_fp8 v[236:239], a[134:135], v[162:163], v[236:239]// 00000000B2A4: D3F300EC 0FB34586
	ds_read_b32 v70, v4 offset:36192                           // 00000000B2AC: D86C8D60 46000004
	ds_read_b32 v71, v4 offset:40544                           // 00000000B2B4: D86C9E60 47000004
	v_mfma_f32_16x16x32_fp8_fp8 v[240:243], a[136:137], v[128:129], 0// 00000000B2BC: D3F300F0 0A030188
	buffer_load_dwordx4 a[8:11], v44, s[12:15], 0 offen        // 00000000B2C4: E05C1000 8083082C
	v_mfma_f32_16x16x32_fp8_fp8 v[240:243], a[138:139], v[130:131], v[240:243]// 00000000B2CC: D3F300F0 0FC3058A
	ds_read_b32 v72, v4 offset:44800                           // 00000000B2D4: D86CAF00 48000004
	ds_read_b32 v73, v4 offset:49152                           // 00000000B2DC: D86CC000 49000004
	v_mfma_f32_16x16x32_fp8_fp8 v[244:247], a[136:137], v[160:161], 0// 00000000B2E4: D3F300F4 0A034188
	v_mfma_f32_16x16x32_fp8_fp8 v[244:247], a[138:139], v[162:163], v[244:247]// 00000000B2EC: D3F300F4 0FD3458A
	ds_read_b32 v74, v4 offset:44832                           // 00000000B2F4: D86CAF20 4A000004
	ds_read_b32 v75, v4 offset:49184                           // 00000000B2FC: D86CC020 4B000004
	v_mfma_f32_16x16x32_fp8_fp8 v[248:251], a[140:141], v[128:129], 0// 00000000B304: D3F300F8 0A03018C
	buffer_load_dwordx4 a[12:15], v45, s[12:15], 0 offen       // 00000000B30C: E05C1000 80830C2D
	s_add_u32 s12, s78, s12                                    // 00000000B314: 800C0C4E
	s_addc_u32 s13, 0, s13                                     // 00000000B318: 820D0D80
	v_mfma_f32_16x16x32_fp8_fp8 v[248:251], a[142:143], v[130:131], v[248:251]// 00000000B31C: D3F300F8 0FE3058E
	ds_read_b32 v76, v4 offset:44864                           // 00000000B324: D86CAF40 4C000004
	ds_read_b32 v77, v4 offset:49216                           // 00000000B32C: D86CC040 4D000004
	v_mfma_f32_16x16x32_fp8_fp8 v[252:255], a[140:141], v[160:161], 0// 00000000B334: D3F300FC 0A03418C
	v_mfma_f32_16x16x32_fp8_fp8 v[252:255], a[142:143], v[162:163], v[252:255]// 00000000B33C: D3F300FC 0FF3458E
	ds_read_b32 v78, v4 offset:44896                           // 00000000B344: D86CAF60 4E000004
	ds_read_b32 v79, v4 offset:49248                           // 00000000B34C: D86CC060 4F000004
	s_waitcnt vmcnt(29)                                        // 00000000B354: BF8C4F7D
	v_mfma_f32_16x16x32_fp8_fp8 v[224:227], a[144:145], v[132:133], v[224:227]// 00000000B358: D3F300E0 0F830990
	buffer_load_dwordx4 a[16:19], v42, s[12:15], 0 offen       // 00000000B360: E05C1000 8083102A
	v_mfma_f32_16x16x32_fp8_fp8 v[224:227], a[146:147], v[134:135], v[224:227]// 00000000B368: D3F300E0 0F830D92
	v_mfma_f32_16x16x32_fp8_fp8 v[228:231], a[144:145], v[164:165], v[228:231]// 00000000B370: D3F300E4 0F934990
	v_mfma_f32_16x16x32_fp8_fp8 v[228:231], a[146:147], v[166:167], v[228:231]// 00000000B378: D3F300E4 0F934D92
	v_mfma_f32_16x16x32_fp8_fp8 v[232:235], a[148:149], v[132:133], v[232:235]// 00000000B380: D3F300E8 0FA30994
	buffer_load_dwordx4 a[20:23], v43, s[12:15], 0 offen       // 00000000B388: E05C1000 8083142B
	v_mfma_f32_16x16x32_fp8_fp8 v[232:235], a[150:151], v[134:135], v[232:235]// 00000000B390: D3F300E8 0FA30D96
	v_mfma_f32_16x16x32_fp8_fp8 v[236:239], a[148:149], v[164:165], v[236:239]// 00000000B398: D3F300EC 0FB34994
	v_mfma_f32_16x16x32_fp8_fp8 v[236:239], a[150:151], v[166:167], v[236:239]// 00000000B3A0: D3F300EC 0FB34D96
	v_mfma_f32_16x16x32_fp8_fp8 v[240:243], a[152:153], v[132:133], v[240:243]// 00000000B3A8: D3F300F0 0FC30998
	buffer_load_dwordx4 a[24:27], v44, s[12:15], 0 offen       // 00000000B3B0: E05C1000 8083182C
	v_mfma_f32_16x16x32_fp8_fp8 v[240:243], a[154:155], v[134:135], v[240:243]// 00000000B3B8: D3F300F0 0FC30D9A
	v_mfma_f32_16x16x32_fp8_fp8 v[244:247], a[152:153], v[164:165], v[244:247]// 00000000B3C0: D3F300F4 0FD34998
	v_mfma_f32_16x16x32_fp8_fp8 v[244:247], a[154:155], v[166:167], v[244:247]// 00000000B3C8: D3F300F4 0FD34D9A
	v_mfma_f32_16x16x32_fp8_fp8 v[248:251], a[156:157], v[132:133], v[248:251]// 00000000B3D0: D3F300F8 0FE3099C
	buffer_load_dwordx4 a[28:31], v45, s[12:15], 0 offen       // 00000000B3D8: E05C1000 80831C2D
	s_add_u32 s12, s78, s12                                    // 00000000B3E0: 800C0C4E
	s_addc_u32 s13, 0, s13                                     // 00000000B3E4: 820D0D80
	v_mfma_f32_16x16x32_fp8_fp8 v[248:251], a[158:159], v[134:135], v[248:251]// 00000000B3E8: D3F300F8 0FE30D9E
	v_mfma_f32_16x16x32_fp8_fp8 v[252:255], a[156:157], v[164:165], v[252:255]// 00000000B3F0: D3F300FC 0FF3499C
	v_mfma_f32_16x16x32_fp8_fp8 v[252:255], a[158:159], v[166:167], v[252:255]// 00000000B3F8: D3F300FC 0FF34D9E
	s_waitcnt vmcnt(29)                                        // 00000000B400: BF8C4F7D
	v_mfma_f32_16x16x32_fp8_fp8 v[224:227], a[160:161], v[136:137], v[224:227]// 00000000B404: D3F300E0 0F8311A0
	buffer_load_dwordx4 a[32:35], v42, s[12:15], 0 offen       // 00000000B40C: E05C1000 8083202A
	v_mfma_f32_16x16x32_fp8_fp8 v[224:227], a[162:163], v[138:139], v[224:227]// 00000000B414: D3F300E0 0F8315A2
	ds_write_b64 v3, v[192:193] offset:18688                   // 00000000B41C: D89A4900 0000C003
	v_mfma_f32_16x16x32_fp8_fp8 v[228:231], a[160:161], v[168:169], v[228:231]// 00000000B424: D3F300E4 0F9351A0
	v_mfma_f32_16x16x32_fp8_fp8 v[228:231], a[162:163], v[170:171], v[228:231]// 00000000B42C: D3F300E4 0F9355A2
	ds_write_b64 v3, v[194:195] offset:27392                   // 00000000B434: D89A6B00 0000C203
	v_mfma_f32_16x16x32_fp8_fp8 v[232:235], a[164:165], v[136:137], v[232:235]// 00000000B43C: D3F300E8 0FA311A4
	buffer_load_dwordx4 a[36:39], v43, s[12:15], 0 offen       // 00000000B444: E05C1000 8083242B
	v_mfma_f32_16x16x32_fp8_fp8 v[232:235], a[166:167], v[138:139], v[232:235]// 00000000B44C: D3F300E8 0FA315A6
	ds_write_b64 v3, v[196:197] offset:20864                   // 00000000B454: D89A5180 0000C403
	v_mfma_f32_16x16x32_fp8_fp8 v[236:239], a[164:165], v[168:169], v[236:239]// 00000000B45C: D3F300EC 0FB351A4
	v_mfma_f32_16x16x32_fp8_fp8 v[236:239], a[166:167], v[170:171], v[236:239]// 00000000B464: D3F300EC 0FB355A6
	ds_write_b64 v3, v[198:199] offset:29568                   // 00000000B46C: D89A7380 0000C603
	v_mfma_f32_16x16x32_fp8_fp8 v[240:243], a[168:169], v[136:137], v[240:243]// 00000000B474: D3F300F0 0FC311A8
	buffer_load_dwordx4 a[40:43], v44, s[12:15], 0 offen       // 00000000B47C: E05C1000 8083282C
	v_mfma_f32_16x16x32_fp8_fp8 v[240:243], a[170:171], v[138:139], v[240:243]// 00000000B484: D3F300F0 0FC315AA
	ds_write_b64 v3, v[200:201] offset:23040                   // 00000000B48C: D89A5A00 0000C803
	v_mfma_f32_16x16x32_fp8_fp8 v[244:247], a[168:169], v[168:169], v[244:247]// 00000000B494: D3F300F4 0FD351A8
	v_mfma_f32_16x16x32_fp8_fp8 v[244:247], a[170:171], v[170:171], v[244:247]// 00000000B49C: D3F300F4 0FD355AA
	ds_write_b64 v3, v[202:203] offset:31744                   // 00000000B4A4: D89A7C00 0000CA03
	v_mfma_f32_16x16x32_fp8_fp8 v[248:251], a[172:173], v[136:137], v[248:251]// 00000000B4AC: D3F300F8 0FE311AC
	buffer_load_dwordx4 a[44:47], v45, s[12:15], 0 offen       // 00000000B4B4: E05C1000 80832C2D
	s_add_u32 s12, s78, s12                                    // 00000000B4BC: 800C0C4E
	s_addc_u32 s13, 0, s13                                     // 00000000B4C0: 820D0D80
	v_mfma_f32_16x16x32_fp8_fp8 v[248:251], a[174:175], v[138:139], v[248:251]// 00000000B4C4: D3F300F8 0FE315AE
	ds_write_b64 v3, v[204:205] offset:25216                   // 00000000B4CC: D89A6280 0000CC03
	v_mfma_f32_16x16x32_fp8_fp8 v[252:255], a[172:173], v[168:169], v[252:255]// 00000000B4D4: D3F300FC 0FF351AC
	v_mfma_f32_16x16x32_fp8_fp8 v[252:255], a[174:175], v[170:171], v[252:255]// 00000000B4DC: D3F300FC 0FF355AE
	ds_write_b64 v3, v[206:207] offset:33920                   // 00000000B4E4: D89A8480 0000CE03
	s_waitcnt vmcnt(29)                                        // 00000000B4EC: BF8C4F7D
	v_mfma_f32_16x16x32_fp8_fp8 v[224:227], a[176:177], v[140:141], v[224:227]// 00000000B4F0: D3F300E0 0F8319B0
	buffer_load_dwordx4 a[48:51], v42, s[12:15], 0 offen       // 00000000B4F8: E05C1000 8083302A
	v_mfma_f32_16x16x32_fp8_fp8 v[224:227], a[178:179], v[142:143], v[224:227]// 00000000B500: D3F300E0 0F831DB2
	v_mfma_f32_16x16x32_fp8_fp8 v[228:231], a[176:177], v[172:173], v[228:231]// 00000000B508: D3F300E4 0F9359B0
	v_mfma_f32_16x16x32_fp8_fp8 v[228:231], a[178:179], v[174:175], v[228:231]// 00000000B510: D3F300E4 0F935DB2
	v_mfma_f32_16x16x32_fp8_fp8 v[232:235], a[180:181], v[140:141], v[232:235]// 00000000B518: D3F300E8 0FA319B4
	buffer_load_dwordx4 a[52:55], v43, s[12:15], 0 offen       // 00000000B520: E05C1000 8083342B
	v_mfma_f32_16x16x32_fp8_fp8 v[232:235], a[182:183], v[142:143], v[232:235]// 00000000B528: D3F300E8 0FA31DB6
	v_mfma_f32_16x16x32_fp8_fp8 v[236:239], a[180:181], v[172:173], v[236:239]// 00000000B530: D3F300EC 0FB359B4
	v_mfma_f32_16x16x32_fp8_fp8 v[236:239], a[182:183], v[174:175], v[236:239]// 00000000B538: D3F300EC 0FB35DB6
	v_mfma_f32_16x16x32_fp8_fp8 v[240:243], a[184:185], v[140:141], v[240:243]// 00000000B540: D3F300F0 0FC319B8
	buffer_load_dwordx4 a[56:59], v44, s[12:15], 0 offen       // 00000000B548: E05C1000 8083382C
	v_mfma_f32_16x16x32_fp8_fp8 v[240:243], a[186:187], v[142:143], v[240:243]// 00000000B550: D3F300F0 0FC31DBA
	v_mfma_f32_16x16x32_fp8_fp8 v[244:247], a[184:185], v[172:173], v[244:247]// 00000000B558: D3F300F4 0FD359B8
	v_mfma_f32_16x16x32_fp8_fp8 v[244:247], a[186:187], v[174:175], v[244:247]// 00000000B560: D3F300F4 0FD35DBA
	v_mfma_f32_16x16x32_fp8_fp8 v[248:251], a[188:189], v[140:141], v[248:251]// 00000000B568: D3F300F8 0FE319BC
	buffer_load_dwordx4 a[60:63], v45, s[12:15], 0 offen       // 00000000B570: E05C1000 80833C2D
	s_add_u32 s12, s78, s12                                    // 00000000B578: 800C0C4E
	s_addc_u32 s13, 0, s13                                     // 00000000B57C: 820D0D80
	v_mfma_f32_16x16x32_fp8_fp8 v[248:251], a[190:191], v[142:143], v[248:251]// 00000000B580: D3F300F8 0FE31DBE
	v_mfma_f32_16x16x32_fp8_fp8 v[252:255], a[188:189], v[172:173], v[252:255]// 00000000B588: D3F300FC 0FF359BC
	v_mfma_f32_16x16x32_fp8_fp8 v[252:255], a[190:191], v[174:175], v[252:255]// 00000000B590: D3F300FC 0FF35DBE
	s_waitcnt vmcnt(29)                                        // 00000000B598: BF8C4F7D
	v_mfma_f32_16x16x32_fp8_fp8 v[224:227], a[192:193], v[144:145], v[224:227]// 00000000B59C: D3F300E0 0F8321C0
	buffer_load_dwordx4 a[64:67], v42, s[12:15], 0 offen       // 00000000B5A4: E05C1000 8083402A
	v_mfma_f32_16x16x32_fp8_fp8 v[224:227], a[194:195], v[146:147], v[224:227]// 00000000B5AC: D3F300E0 0F8325C2
	v_mfma_f32_16x16x32_fp8_fp8 v[228:231], a[192:193], v[176:177], v[228:231]// 00000000B5B4: D3F300E4 0F9361C0
	v_mfma_f32_16x16x32_fp8_fp8 v[228:231], a[194:195], v[178:179], v[228:231]// 00000000B5BC: D3F300E4 0F9365C2
	v_mfma_f32_16x16x32_fp8_fp8 v[232:235], a[196:197], v[144:145], v[232:235]// 00000000B5C4: D3F300E8 0FA321C4
	buffer_load_dwordx4 a[68:71], v43, s[12:15], 0 offen       // 00000000B5CC: E05C1000 8083442B
	v_mfma_f32_16x16x32_fp8_fp8 v[232:235], a[198:199], v[146:147], v[232:235]// 00000000B5D4: D3F300E8 0FA325C6
	v_mfma_f32_16x16x32_fp8_fp8 v[236:239], a[196:197], v[176:177], v[236:239]// 00000000B5DC: D3F300EC 0FB361C4
	v_mfma_f32_16x16x32_fp8_fp8 v[236:239], a[198:199], v[178:179], v[236:239]// 00000000B5E4: D3F300EC 0FB365C6
	v_mfma_f32_16x16x32_fp8_fp8 v[240:243], a[200:201], v[144:145], v[240:243]// 00000000B5EC: D3F300F0 0FC321C8
	buffer_load_dwordx4 a[72:75], v44, s[12:15], 0 offen       // 00000000B5F4: E05C1000 8083482C
	v_mfma_f32_16x16x32_fp8_fp8 v[240:243], a[202:203], v[146:147], v[240:243]// 00000000B5FC: D3F300F0 0FC325CA
	v_mfma_f32_16x16x32_fp8_fp8 v[244:247], a[200:201], v[176:177], v[244:247]// 00000000B604: D3F300F4 0FD361C8
	v_mfma_f32_16x16x32_fp8_fp8 v[244:247], a[202:203], v[178:179], v[244:247]// 00000000B60C: D3F300F4 0FD365CA
	v_mfma_f32_16x16x32_fp8_fp8 v[248:251], a[204:205], v[144:145], v[248:251]// 00000000B614: D3F300F8 0FE321CC
	buffer_load_dwordx4 a[76:79], v45, s[12:15], 0 offen       // 00000000B61C: E05C1000 80834C2D
	s_add_u32 s12, s78, s12                                    // 00000000B624: 800C0C4E
	s_addc_u32 s13, 0, s13                                     // 00000000B628: 820D0D80
	v_mfma_f32_16x16x32_fp8_fp8 v[248:251], a[206:207], v[146:147], v[248:251]// 00000000B62C: D3F300F8 0FE325CE
	v_mfma_f32_16x16x32_fp8_fp8 v[252:255], a[204:205], v[176:177], v[252:255]// 00000000B634: D3F300FC 0FF361CC
	v_mfma_f32_16x16x32_fp8_fp8 v[252:255], a[206:207], v[178:179], v[252:255]// 00000000B63C: D3F300FC 0FF365CE
	s_waitcnt vmcnt(29)                                        // 00000000B644: BF8C4F7D
	v_mfma_f32_16x16x32_fp8_fp8 v[224:227], a[208:209], v[148:149], v[224:227]// 00000000B648: D3F300E0 0F8329D0
	buffer_load_dwordx4 a[80:83], v42, s[12:15], 0 offen       // 00000000B650: E05C1000 8083502A
	v_mfma_f32_16x16x32_fp8_fp8 v[224:227], a[210:211], v[150:151], v[224:227]// 00000000B658: D3F300E0 0F832DD2
	v_mfma_f32_16x16x32_fp8_fp8 v[228:231], a[208:209], v[180:181], v[228:231]// 00000000B660: D3F300E4 0F9369D0
	v_mfma_f32_16x16x32_fp8_fp8 v[228:231], a[210:211], v[182:183], v[228:231]// 00000000B668: D3F300E4 0F936DD2
	v_mfma_f32_16x16x32_fp8_fp8 v[232:235], a[212:213], v[148:149], v[232:235]// 00000000B670: D3F300E8 0FA329D4
	buffer_load_dwordx4 a[84:87], v43, s[12:15], 0 offen       // 00000000B678: E05C1000 8083542B
	v_mfma_f32_16x16x32_fp8_fp8 v[232:235], a[214:215], v[150:151], v[232:235]// 00000000B680: D3F300E8 0FA32DD6
	v_mfma_f32_16x16x32_fp8_fp8 v[236:239], a[212:213], v[180:181], v[236:239]// 00000000B688: D3F300EC 0FB369D4
	v_mfma_f32_16x16x32_fp8_fp8 v[236:239], a[214:215], v[182:183], v[236:239]// 00000000B690: D3F300EC 0FB36DD6
	v_mfma_f32_16x16x32_fp8_fp8 v[240:243], a[216:217], v[148:149], v[240:243]// 00000000B698: D3F300F0 0FC329D8
	buffer_load_dwordx4 a[88:91], v44, s[12:15], 0 offen       // 00000000B6A0: E05C1000 8083582C
	v_mfma_f32_16x16x32_fp8_fp8 v[240:243], a[218:219], v[150:151], v[240:243]// 00000000B6A8: D3F300F0 0FC32DDA
	v_mfma_f32_16x16x32_fp8_fp8 v[244:247], a[216:217], v[180:181], v[244:247]// 00000000B6B0: D3F300F4 0FD369D8
	v_mfma_f32_16x16x32_fp8_fp8 v[244:247], a[218:219], v[182:183], v[244:247]// 00000000B6B8: D3F300F4 0FD36DDA
	v_mfma_f32_16x16x32_fp8_fp8 v[248:251], a[220:221], v[148:149], v[248:251]// 00000000B6C0: D3F300F8 0FE329DC
	buffer_load_dwordx4 a[92:95], v45, s[12:15], 0 offen       // 00000000B6C8: E05C1000 80835C2D
	s_add_u32 s12, s78, s12                                    // 00000000B6D0: 800C0C4E
	s_addc_u32 s13, 0, s13                                     // 00000000B6D4: 820D0D80
	v_mfma_f32_16x16x32_fp8_fp8 v[248:251], a[222:223], v[150:151], v[248:251]// 00000000B6D8: D3F300F8 0FE32DDE
	v_mfma_f32_16x16x32_fp8_fp8 v[252:255], a[220:221], v[180:181], v[252:255]// 00000000B6E0: D3F300FC 0FF369DC
	v_mfma_f32_16x16x32_fp8_fp8 v[252:255], a[222:223], v[182:183], v[252:255]// 00000000B6E8: D3F300FC 0FF36DDE
	s_waitcnt vmcnt(29)                                        // 00000000B6F0: BF8C4F7D
	v_mfma_f32_16x16x32_fp8_fp8 v[224:227], a[224:225], v[152:153], v[224:227]// 00000000B6F4: D3F300E0 0F8331E0
	buffer_load_dwordx4 a[96:99], v42, s[12:15], 0 offen       // 00000000B6FC: E05C1000 8083602A
	v_mfma_f32_16x16x32_fp8_fp8 v[224:227], a[226:227], v[154:155], v[224:227]// 00000000B704: D3F300E0 0F8335E2
	v_mfma_f32_16x16x32_fp8_fp8 v[228:231], a[224:225], v[184:185], v[228:231]// 00000000B70C: D3F300E4 0F9371E0
	v_mfma_f32_16x16x32_fp8_fp8 v[228:231], a[226:227], v[186:187], v[228:231]// 00000000B714: D3F300E4 0F9375E2
	v_mfma_f32_16x16x32_fp8_fp8 v[232:235], a[228:229], v[152:153], v[232:235]// 00000000B71C: D3F300E8 0FA331E4
	buffer_load_dwordx4 a[100:103], v43, s[12:15], 0 offen     // 00000000B724: E05C1000 8083642B
	v_mfma_f32_16x16x32_fp8_fp8 v[232:235], a[230:231], v[154:155], v[232:235]// 00000000B72C: D3F300E8 0FA335E6
	v_mfma_f32_16x16x32_fp8_fp8 v[236:239], a[228:229], v[184:185], v[236:239]// 00000000B734: D3F300EC 0FB371E4
	v_mfma_f32_16x16x32_fp8_fp8 v[236:239], a[230:231], v[186:187], v[236:239]// 00000000B73C: D3F300EC 0FB375E6
	v_mfma_f32_16x16x32_fp8_fp8 v[240:243], a[232:233], v[152:153], v[240:243]// 00000000B744: D3F300F0 0FC331E8
	buffer_load_dwordx4 a[104:107], v44, s[12:15], 0 offen     // 00000000B74C: E05C1000 8083682C
	v_mfma_f32_16x16x32_fp8_fp8 v[240:243], a[234:235], v[154:155], v[240:243]// 00000000B754: D3F300F0 0FC335EA
	v_mfma_f32_16x16x32_fp8_fp8 v[244:247], a[232:233], v[184:185], v[244:247]// 00000000B75C: D3F300F4 0FD371E8
	v_mfma_f32_16x16x32_fp8_fp8 v[244:247], a[234:235], v[186:187], v[244:247]// 00000000B764: D3F300F4 0FD375EA
	v_mfma_f32_16x16x32_fp8_fp8 v[248:251], a[236:237], v[152:153], v[248:251]// 00000000B76C: D3F300F8 0FE331EC
	buffer_load_dwordx4 a[108:111], v45, s[12:15], 0 offen     // 00000000B774: E05C1000 80836C2D
	s_add_u32 s12, s78, s12                                    // 00000000B77C: 800C0C4E
	s_addc_u32 s13, 0, s13                                     // 00000000B780: 820D0D80
	v_mfma_f32_16x16x32_fp8_fp8 v[248:251], a[238:239], v[154:155], v[248:251]// 00000000B784: D3F300F8 0FE335EE
	v_mfma_f32_16x16x32_fp8_fp8 v[252:255], a[236:237], v[184:185], v[252:255]// 00000000B78C: D3F300FC 0FF371EC
	v_mfma_f32_16x16x32_fp8_fp8 v[252:255], a[238:239], v[186:187], v[252:255]// 00000000B794: D3F300FC 0FF375EE
	s_waitcnt vmcnt(28)                                        // 00000000B79C: BF8C4F7C
	v_mfma_f32_16x16x32_fp8_fp8 v[224:227], a[240:241], v[156:157], v[224:227]// 00000000B7A0: D3F300E0 0F8339F0
	buffer_load_dwordx4 a[112:115], v42, s[12:15], 0 offen     // 00000000B7A8: E05C1000 8083702A
	v_mfma_f32_16x16x32_fp8_fp8 v[224:227], a[242:243], v[158:159], v[224:227]// 00000000B7B0: D3F300E0 0F833DF2
	v_mfma_f32_16x16x32_fp8_fp8 v[228:231], a[240:241], v[188:189], v[228:231]// 00000000B7B8: D3F300E4 0F9379F0
	buffer_load_dword v12, v5, s[16:19], 0 offen               // 00000000B7C0: E0501000 80040C05
	v_mfma_f32_16x16x32_fp8_fp8 v[228:231], a[242:243], v[190:191], v[228:231]// 00000000B7C8: D3F300E4 0F937DF2
	v_mfma_f32_16x16x32_fp8_fp8 v[232:235], a[244:245], v[156:157], v[232:235]// 00000000B7D0: D3F300E8 0FA339F4
	buffer_load_dwordx4 a[116:119], v43, s[12:15], 0 offen     // 00000000B7D8: E05C1000 8083742B
	v_mfma_f32_16x16x32_fp8_fp8 v[232:235], a[246:247], v[158:159], v[232:235]// 00000000B7E0: D3F300E8 0FA33DF6
	v_mfma_f32_16x16x32_fp8_fp8 v[236:239], a[244:245], v[188:189], v[236:239]// 00000000B7E8: D3F300EC 0FB379F4
	v_mfma_f32_16x16x32_fp8_fp8 v[236:239], a[246:247], v[190:191], v[236:239]// 00000000B7F0: D3F300EC 0FB37DF6
	v_mfma_f32_16x16x32_fp8_fp8 v[240:243], a[248:249], v[156:157], v[240:243]// 00000000B7F8: D3F300F0 0FC339F8
	buffer_load_dwordx4 a[120:123], v44, s[12:15], 0 offen     // 00000000B800: E05C1000 8083782C
	v_mfma_f32_16x16x32_fp8_fp8 v[240:243], a[250:251], v[158:159], v[240:243]// 00000000B808: D3F300F0 0FC33DFA
	v_mfma_f32_16x16x32_fp8_fp8 v[244:247], a[248:249], v[188:189], v[244:247]// 00000000B810: D3F300F4 0FD379F8
	v_mfma_f32_16x16x32_fp8_fp8 v[244:247], a[250:251], v[190:191], v[244:247]// 00000000B818: D3F300F4 0FD37DFA
	v_mfma_f32_16x16x32_fp8_fp8 v[248:251], a[252:253], v[156:157], v[248:251]// 00000000B820: D3F300F8 0FE339FC
	buffer_load_dwordx4 a[124:127], v45, s[12:15], 0 offen     // 00000000B828: E05C1000 80837C2D
	v_mfma_f32_16x16x32_fp8_fp8 v[248:251], a[254:255], v[158:159], v[248:251]// 00000000B830: D3F300F8 0FE33DFE
	v_mfma_f32_16x16x32_fp8_fp8 v[252:255], a[252:253], v[188:189], v[252:255]// 00000000B838: D3F300FC 0FF379FC
	v_mfma_f32_16x16x32_fp8_fp8 v[252:255], a[254:255], v[190:191], v[252:255]// 00000000B840: D3F300FC 0FF37DFE
	s_add_u32 s60, 0x200, s80                                  // 00000000B848: 803C50FF 00000200
	s_cmp_lt_u32 s60, s81                                      // 00000000B850: BF0A513C
	s_cselect_b32 s56, s56, 0                                  // 00000000B854: 85388038
	s_cselect_b32 s78, s78, 0                                  // 00000000B858: 854E804E
	s_cselect_b32 s79, s79, 0                                  // 00000000B85C: 854F804F
	s_add_u32 s12, s56, s12                                    // 00000000B860: 800C0C38
	s_addc_u32 s13, 0, s13                                     // 00000000B864: 820D0D80
	s_add_u32 s16, s79, s16                                    // 00000000B868: 8010104F
	s_addc_u32 s17, 0, s17                                     // 00000000B86C: 82111180
	v_mul_f32_e32 v224, v24, v224                              // 00000000B870: 0BC1C118
	v_mul_f32_e32 v225, v24, v225                              // 00000000B874: 0BC3C318
	v_mul_f32_e32 v226, v24, v226                              // 00000000B878: 0BC5C518
	v_mul_f32_e32 v227, v24, v227                              // 00000000B87C: 0BC7C718
	v_mul_f32_dpp v224, v13, v224 row_newbcast:0 row_mask:0xf bank_mask:0xf// 00000000B880: 0BC1C0FA FF01500D
	v_mul_f32_dpp v225, v13, v225 row_newbcast:1 row_mask:0xf bank_mask:0xf// 00000000B888: 0BC3C2FA FF01510D
	v_mul_f32_dpp v226, v13, v226 row_newbcast:2 row_mask:0xf bank_mask:0xf// 00000000B890: 0BC5C4FA FF01520D
	v_mul_f32_dpp v227, v13, v227 row_newbcast:3 row_mask:0xf bank_mask:0xf// 00000000B898: 0BC7C6FA FF01530D
	v_mul_f32_e32 v224, v20, v224                              // 00000000B8A0: 0BC1C114
	v_mul_f32_e32 v225, v20, v225                              // 00000000B8A4: 0BC3C314
	v_mul_f32_e32 v226, v20, v226                              // 00000000B8A8: 0BC5C514
	v_mul_f32_e32 v227, v20, v227                              // 00000000B8AC: 0BC7C714
	v_mul_f32_e32 v228, v25, v228                              // 00000000B8B0: 0BC9C919
	v_mul_f32_e32 v229, v25, v229                              // 00000000B8B4: 0BCBCB19
	v_mul_f32_e32 v230, v25, v230                              // 00000000B8B8: 0BCDCD19
	v_mul_f32_e32 v231, v25, v231                              // 00000000B8BC: 0BCFCF19
	v_mul_f32_dpp v228, v13, v228 row_newbcast:0 row_mask:0xf bank_mask:0xf// 00000000B8C0: 0BC9C8FA FF01500D
	v_mul_f32_dpp v229, v13, v229 row_newbcast:1 row_mask:0xf bank_mask:0xf// 00000000B8C8: 0BCBCAFA FF01510D
	v_mul_f32_dpp v230, v13, v230 row_newbcast:2 row_mask:0xf bank_mask:0xf// 00000000B8D0: 0BCDCCFA FF01520D
	v_mul_f32_dpp v231, v13, v231 row_newbcast:3 row_mask:0xf bank_mask:0xf// 00000000B8D8: 0BCFCEFA FF01530D
	v_mul_f32_e32 v228, v21, v228                              // 00000000B8E0: 0BC9C915
	v_mul_f32_e32 v229, v21, v229                              // 00000000B8E4: 0BCBCB15
	v_mul_f32_e32 v230, v21, v230                              // 00000000B8E8: 0BCDCD15
	v_mul_f32_e32 v231, v21, v231                              // 00000000B8EC: 0BCFCF15
	v_mul_f32_e32 v232, v24, v232                              // 00000000B8F0: 0BD1D118
	v_mul_f32_e32 v233, v24, v233                              // 00000000B8F4: 0BD3D318
	v_mul_f32_e32 v234, v24, v234                              // 00000000B8F8: 0BD5D518
	v_mul_f32_e32 v235, v24, v235                              // 00000000B8FC: 0BD7D718
	v_mul_f32_dpp v232, v13, v232 row_newbcast:4 row_mask:0xf bank_mask:0xf// 00000000B900: 0BD1D0FA FF01540D
	v_mul_f32_dpp v233, v13, v233 row_newbcast:5 row_mask:0xf bank_mask:0xf// 00000000B908: 0BD3D2FA FF01550D
	v_mul_f32_dpp v234, v13, v234 row_newbcast:6 row_mask:0xf bank_mask:0xf// 00000000B910: 0BD5D4FA FF01560D
	v_mul_f32_dpp v235, v13, v235 row_newbcast:7 row_mask:0xf bank_mask:0xf// 00000000B918: 0BD7D6FA FF01570D
	v_mul_f32_e32 v232, v20, v232                              // 00000000B920: 0BD1D114
	v_mul_f32_e32 v233, v20, v233                              // 00000000B924: 0BD3D314
	v_mul_f32_e32 v234, v20, v234                              // 00000000B928: 0BD5D514
	v_mul_f32_e32 v235, v20, v235                              // 00000000B92C: 0BD7D714
	v_mul_f32_e32 v236, v25, v236                              // 00000000B930: 0BD9D919
	v_mul_f32_e32 v237, v25, v237                              // 00000000B934: 0BDBDB19
	v_mul_f32_e32 v238, v25, v238                              // 00000000B938: 0BDDDD19
	v_mul_f32_e32 v239, v25, v239                              // 00000000B93C: 0BDFDF19
	v_mul_f32_dpp v236, v13, v236 row_newbcast:4 row_mask:0xf bank_mask:0xf// 00000000B940: 0BD9D8FA FF01540D
	v_mul_f32_dpp v237, v13, v237 row_newbcast:5 row_mask:0xf bank_mask:0xf// 00000000B948: 0BDBDAFA FF01550D
	v_mul_f32_dpp v238, v13, v238 row_newbcast:6 row_mask:0xf bank_mask:0xf// 00000000B950: 0BDDDCFA FF01560D
	v_mul_f32_dpp v239, v13, v239 row_newbcast:7 row_mask:0xf bank_mask:0xf// 00000000B958: 0BDFDEFA FF01570D
	v_mul_f32_e32 v236, v21, v236                              // 00000000B960: 0BD9D915
	v_mul_f32_e32 v237, v21, v237                              // 00000000B964: 0BDBDB15
	v_mul_f32_e32 v238, v21, v238                              // 00000000B968: 0BDDDD15
	v_mul_f32_e32 v239, v21, v239                              // 00000000B96C: 0BDFDF15
	v_mul_f32_e32 v240, v24, v240                              // 00000000B970: 0BE1E118
	v_mul_f32_e32 v241, v24, v241                              // 00000000B974: 0BE3E318
	v_mul_f32_e32 v242, v24, v242                              // 00000000B978: 0BE5E518
	v_mul_f32_e32 v243, v24, v243                              // 00000000B97C: 0BE7E718
	v_mul_f32_dpp v240, v13, v240 row_newbcast:8 row_mask:0xf bank_mask:0xf// 00000000B980: 0BE1E0FA FF01580D
	v_mul_f32_dpp v241, v13, v241 row_newbcast:9 row_mask:0xf bank_mask:0xf// 00000000B988: 0BE3E2FA FF01590D
	v_mul_f32_dpp v242, v13, v242 row_newbcast:10 row_mask:0xf bank_mask:0xf// 00000000B990: 0BE5E4FA FF015A0D
	v_mul_f32_dpp v243, v13, v243 row_newbcast:11 row_mask:0xf bank_mask:0xf// 00000000B998: 0BE7E6FA FF015B0D
	v_mul_f32_e32 v240, v20, v240                              // 00000000B9A0: 0BE1E114
	v_mul_f32_e32 v241, v20, v241                              // 00000000B9A4: 0BE3E314
	v_mul_f32_e32 v242, v20, v242                              // 00000000B9A8: 0BE5E514
	v_mul_f32_e32 v243, v20, v243                              // 00000000B9AC: 0BE7E714
	v_mul_f32_e32 v244, v25, v244                              // 00000000B9B0: 0BE9E919
	v_mul_f32_e32 v245, v25, v245                              // 00000000B9B4: 0BEBEB19
	v_mul_f32_e32 v246, v25, v246                              // 00000000B9B8: 0BEDED19
	v_mul_f32_e32 v247, v25, v247                              // 00000000B9BC: 0BEFEF19
	v_mul_f32_dpp v244, v13, v244 row_newbcast:8 row_mask:0xf bank_mask:0xf// 00000000B9C0: 0BE9E8FA FF01580D
	v_mul_f32_dpp v245, v13, v245 row_newbcast:9 row_mask:0xf bank_mask:0xf// 00000000B9C8: 0BEBEAFA FF01590D
	v_mul_f32_dpp v246, v13, v246 row_newbcast:10 row_mask:0xf bank_mask:0xf// 00000000B9D0: 0BEDECFA FF015A0D
	v_mul_f32_dpp v247, v13, v247 row_newbcast:11 row_mask:0xf bank_mask:0xf// 00000000B9D8: 0BEFEEFA FF015B0D
	v_mul_f32_e32 v244, v21, v244                              // 00000000B9E0: 0BE9E915
	v_mul_f32_e32 v245, v21, v245                              // 00000000B9E4: 0BEBEB15
	v_mul_f32_e32 v246, v21, v246                              // 00000000B9E8: 0BEDED15
	v_mul_f32_e32 v247, v21, v247                              // 00000000B9EC: 0BEFEF15
	v_mul_f32_e32 v248, v24, v248                              // 00000000B9F0: 0BF1F118
	v_mul_f32_e32 v249, v24, v249                              // 00000000B9F4: 0BF3F318
	v_mul_f32_e32 v250, v24, v250                              // 00000000B9F8: 0BF5F518
	v_mul_f32_e32 v251, v24, v251                              // 00000000B9FC: 0BF7F718
	v_mul_f32_dpp v248, v13, v248 row_newbcast:12 row_mask:0xf bank_mask:0xf// 00000000BA00: 0BF1F0FA FF015C0D
	v_mul_f32_dpp v249, v13, v249 row_newbcast:13 row_mask:0xf bank_mask:0xf// 00000000BA08: 0BF3F2FA FF015D0D
	v_mul_f32_dpp v250, v13, v250 row_newbcast:14 row_mask:0xf bank_mask:0xf// 00000000BA10: 0BF5F4FA FF015E0D
	v_mul_f32_dpp v251, v13, v251 row_newbcast:15 row_mask:0xf bank_mask:0xf// 00000000BA18: 0BF7F6FA FF015F0D
	v_mul_f32_e32 v248, v20, v248                              // 00000000BA20: 0BF1F114
	v_mul_f32_e32 v249, v20, v249                              // 00000000BA24: 0BF3F314
	v_mul_f32_e32 v250, v20, v250                              // 00000000BA28: 0BF5F514
	v_mul_f32_e32 v251, v20, v251                              // 00000000BA2C: 0BF7F714
	v_mul_f32_e32 v252, v25, v252                              // 00000000BA30: 0BF9F919
	v_mul_f32_e32 v253, v25, v253                              // 00000000BA34: 0BFBFB19
	v_mul_f32_e32 v254, v25, v254                              // 00000000BA38: 0BFDFD19
	v_mul_f32_e32 v255, v25, v255                              // 00000000BA3C: 0BFFFF19
	v_mul_f32_dpp v252, v13, v252 row_newbcast:12 row_mask:0xf bank_mask:0xf// 00000000BA40: 0BF9F8FA FF015C0D
	v_mul_f32_dpp v253, v13, v253 row_newbcast:13 row_mask:0xf bank_mask:0xf// 00000000BA48: 0BFBFAFA FF015D0D
	v_mul_f32_dpp v254, v13, v254 row_newbcast:14 row_mask:0xf bank_mask:0xf// 00000000BA50: 0BFDFCFA FF015E0D
	v_mul_f32_dpp v255, v13, v255 row_newbcast:15 row_mask:0xf bank_mask:0xf// 00000000BA58: 0BFFFEFA FF015F0D
	v_mul_f32_e32 v252, v21, v252                              // 00000000BA60: 0BF9F915
	v_mul_f32_e32 v253, v21, v253                              // 00000000BA64: 0BFBFB15
	v_mul_f32_e32 v254, v21, v254                              // 00000000BA68: 0BFDFD15
	v_mul_f32_e32 v255, v21, v255                              // 00000000BA6C: 0BFFFF15
	v_cvt_pkrtz_f16_f32 v224, v224, v225                       // 00000000BA70: D29600E0 0003C3E0
	v_cvt_pkrtz_f16_f32 v225, v226, v227                       // 00000000BA78: D29600E1 0003C7E2
	v_cvt_pkrtz_f16_f32 v226, v228, v229                       // 00000000BA80: D29600E2 0003CBE4
	v_cvt_pkrtz_f16_f32 v227, v230, v231                       // 00000000BA88: D29600E3 0003CFE6
	v_cvt_pkrtz_f16_f32 v228, v232, v233                       // 00000000BA90: D29600E4 0003D3E8
	v_cvt_pkrtz_f16_f32 v229, v234, v235                       // 00000000BA98: D29600E5 0003D7EA
	v_cvt_pkrtz_f16_f32 v230, v236, v237                       // 00000000BAA0: D29600E6 0003DBEC
	v_cvt_pkrtz_f16_f32 v231, v238, v239                       // 00000000BAA8: D29600E7 0003DFEE
	v_cvt_pkrtz_f16_f32 v232, v240, v241                       // 00000000BAB0: D29600E8 0003E3F0
	v_cvt_pkrtz_f16_f32 v233, v242, v243                       // 00000000BAB8: D29600E9 0003E7F2
	v_cvt_pkrtz_f16_f32 v234, v244, v245                       // 00000000BAC0: D29600EA 0003EBF4
	v_cvt_pkrtz_f16_f32 v235, v246, v247                       // 00000000BAC8: D29600EB 0003EFF6
	v_cvt_pkrtz_f16_f32 v236, v248, v249                       // 00000000BAD0: D29600EC 0003F3F8
	v_cvt_pkrtz_f16_f32 v237, v250, v251                       // 00000000BAD8: D29600ED 0003F7FA
	v_cvt_pkrtz_f16_f32 v238, v252, v253                       // 00000000BAE0: D29600EE 0003FBFC
	v_cvt_pkrtz_f16_f32 v239, v254, v255                       // 00000000BAE8: D29600EF 0003FFFE
	s_cmp_ge_u32 s80, 0x200                                    // 00000000BAF0: BF09FF50 00000200
	s_cselect_b32 s59, 0x200, s59                              // 00000000BAF8: 853B3BFF 00000200
	s_setvskip s20, 0                                          // 00000000BB00: BF108014
	global_atomic_pk_add_f16 v80, v64, s[8:9]                  // 00000000BB04: DD388000 00084050
	s_setvskip 0, 0                                            // 00000000BB0C: BF108080
	s_setvskip s20, 0                                          // 00000000BB10: BF108014
	global_atomic_pk_add_f16 v80, v65, s[8:9] offset:256       // 00000000BB14: DD388100 00084150
	s_setvskip 0, 0                                            // 00000000BB1C: BF108080
	s_setvskip s20, 1                                          // 00000000BB20: BF108114
	global_atomic_pk_add_f16 v82, v66, s[8:9]                  // 00000000BB24: DD388000 00084252
	s_setvskip 0, 0                                            // 00000000BB2C: BF108080
	s_setvskip s20, 1                                          // 00000000BB30: BF108114
	global_atomic_pk_add_f16 v82, v67, s[8:9] offset:256       // 00000000BB34: DD388100 00084352
	s_setvskip 0, 0                                            // 00000000BB3C: BF108080
	s_setvskip s20, 2                                          // 00000000BB40: BF108214
	global_atomic_pk_add_f16 v84, v68, s[8:9]                  // 00000000BB44: DD388000 00084454
	s_setvskip 0, 0                                            // 00000000BB4C: BF108080
	s_setvskip s20, 2                                          // 00000000BB50: BF108214
	global_atomic_pk_add_f16 v84, v69, s[8:9] offset:256       // 00000000BB54: DD388100 00084554
	s_setvskip 0, 0                                            // 00000000BB5C: BF108080
	s_setvskip s20, 3                                          // 00000000BB60: BF108314
	global_atomic_pk_add_f16 v86, v70, s[8:9]                  // 00000000BB64: DD388000 00084656
	s_setvskip 0, 0                                            // 00000000BB6C: BF108080
	s_setvskip s20, 3                                          // 00000000BB70: BF108314
	global_atomic_pk_add_f16 v86, v71, s[8:9] offset:256       // 00000000BB74: DD388100 00084756
	s_setvskip 0, 0                                            // 00000000BB7C: BF108080
	s_setvskip s20, 4                                          // 00000000BB80: BF108414
	global_atomic_pk_add_f16 v88, v72, s[8:9]                  // 00000000BB84: DD388000 00084858
	s_setvskip 0, 0                                            // 00000000BB8C: BF108080
	s_setvskip s20, 4                                          // 00000000BB90: BF108414
	global_atomic_pk_add_f16 v88, v73, s[8:9] offset:256       // 00000000BB94: DD388100 00084958
	s_setvskip 0, 0                                            // 00000000BB9C: BF108080
	s_setvskip s20, 5                                          // 00000000BBA0: BF108514
	global_atomic_pk_add_f16 v90, v74, s[8:9]                  // 00000000BBA4: DD388000 00084A5A
	s_setvskip 0, 0                                            // 00000000BBAC: BF108080
	s_setvskip s20, 5                                          // 00000000BBB0: BF108514
	global_atomic_pk_add_f16 v90, v75, s[8:9] offset:256       // 00000000BBB4: DD388100 00084B5A
	s_setvskip 0, 0                                            // 00000000BBBC: BF108080
	s_setvskip s20, 6                                          // 00000000BBC0: BF108614
	global_atomic_pk_add_f16 v92, v76, s[8:9]                  // 00000000BBC4: DD388000 00084C5C
	s_setvskip 0, 0                                            // 00000000BBCC: BF108080
	s_setvskip s20, 6                                          // 00000000BBD0: BF108614
	global_atomic_pk_add_f16 v92, v77, s[8:9] offset:256       // 00000000BBD4: DD388100 00084D5C
	s_setvskip 0, 0                                            // 00000000BBDC: BF108080
	s_setvskip s20, 7                                          // 00000000BBE0: BF108714
	global_atomic_pk_add_f16 v94, v78, s[8:9]                  // 00000000BBE4: DD388000 00084E5E
	s_setvskip 0, 0                                            // 00000000BBEC: BF108080
	s_setvskip s20, 7                                          // 00000000BBF0: BF108714
	global_atomic_pk_add_f16 v94, v79, s[8:9] offset:256       // 00000000BBF4: DD388100 00084F5E
	s_setvskip 0, 0                                            // 00000000BBFC: BF108080
	s_add_u32 s8, s59, s8                                      // 00000000BC00: 8008083B
	s_addc_u32 s9, 0, s9                                       // 00000000BC04: 82090980
	s_addk_i32 s80, 0x100                                      // 00000000BC08: B7500100
	s_cmp_lt_i32 s80, s81                                      // 00000000BC0C: BF045150
	s_cbranch_scc0 label_1313                                  // 00000000BC10: BF84EF8E
	s_branch label_1E8D                                        // 00000000BC14: BF82FB07

000000000000bc18 <label_2386>:
	s_cmp_ge_u32 s59, 0                                        // 00000000BC18: BF09803B
	s_cselect_b32 s59, 0x200, s59                              // 00000000BC1C: 853B3BFF 00000200
	s_waitcnt lgkmcnt(0)                                       // 00000000BC24: BF8CC07F
	s_barrier                                                  // 00000000BC28: BF8A0000
	s_cmp_eq_u32 s64, 0x100                                    // 00000000BC2C: BF06FF40 00000100
	s_cbranch_scc0 label_2402                                  // 00000000BC34: BF840074
	ds_write_b64 v3, v[192:193] offset:18688                   // 00000000BC38: D89A4900 0000C003
	ds_write_b64 v3, v[194:195] offset:27392                   // 00000000BC40: D89A6B00 0000C203
	ds_write_b64 v3, v[196:197] offset:20864                   // 00000000BC48: D89A5180 0000C403
	ds_write_b64 v3, v[198:199] offset:29568                   // 00000000BC50: D89A7380 0000C603
	ds_write_b64 v3, v[200:201] offset:23040                   // 00000000BC58: D89A5A00 0000C803
	ds_write_b64 v3, v[202:203] offset:31744                   // 00000000BC60: D89A7C00 0000CA03
	ds_write_b64 v3, v[204:205] offset:25216                   // 00000000BC68: D89A6280 0000CC03
	ds_write_b64 v3, v[206:207] offset:33920                   // 00000000BC70: D89A8480 0000CE03
	s_waitcnt lgkmcnt(0)                                       // 00000000BC78: BF8CC07F
	s_barrier                                                  // 00000000BC7C: BF8A0000
	ds_read_b32 v64, v4 offset:18688                           // 00000000BC80: D86C4900 40000004
	ds_read_b32 v65, v4 offset:23040                           // 00000000BC88: D86C5A00 41000004
	ds_read_b32 v66, v4 offset:18720                           // 00000000BC90: D86C4920 42000004
	ds_read_b32 v67, v4 offset:23072                           // 00000000BC98: D86C5A20 43000004
	ds_read_b32 v68, v4 offset:18752                           // 00000000BCA0: D86C4940 44000004
	ds_read_b32 v69, v4 offset:23104                           // 00000000BCA8: D86C5A40 45000004
	ds_read_b32 v70, v4 offset:18784                           // 00000000BCB0: D86C4960 46000004
	ds_read_b32 v71, v4 offset:23136                           // 00000000BCB8: D86C5A60 47000004
	ds_read_b32 v72, v4 offset:27392                           // 00000000BCC0: D86C6B00 48000004
	ds_read_b32 v73, v4 offset:31744                           // 00000000BCC8: D86C7C00 49000004
	ds_read_b32 v74, v4 offset:27424                           // 00000000BCD0: D86C6B20 4A000004
	ds_read_b32 v75, v4 offset:31776                           // 00000000BCD8: D86C7C20 4B000004
	ds_read_b32 v76, v4 offset:27456                           // 00000000BCE0: D86C6B40 4C000004
	ds_read_b32 v77, v4 offset:31808                           // 00000000BCE8: D86C7C40 4D000004
	ds_read_b32 v78, v4 offset:27488                           // 00000000BCF0: D86C6B60 4E000004
	ds_read_b32 v79, v4 offset:31840                           // 00000000BCF8: D86C7C60 4F000004
	s_waitcnt lgkmcnt(0)                                       // 00000000BD00: BF8CC07F
	s_setvskip s20, 0                                          // 00000000BD04: BF108014
	global_atomic_pk_add_f16 v80, v64, s[8:9]                  // 00000000BD08: DD388000 00084050
	s_setvskip 0, 0                                            // 00000000BD10: BF108080
	s_setvskip s20, 0                                          // 00000000BD14: BF108014
	global_atomic_pk_add_f16 v80, v65, s[8:9] offset:256       // 00000000BD18: DD388100 00084150
	s_setvskip 0, 0                                            // 00000000BD20: BF108080
	s_setvskip s20, 1                                          // 00000000BD24: BF108114
	global_atomic_pk_add_f16 v82, v66, s[8:9]                  // 00000000BD28: DD388000 00084252
	s_setvskip 0, 0                                            // 00000000BD30: BF108080
	s_setvskip s20, 1                                          // 00000000BD34: BF108114
	global_atomic_pk_add_f16 v82, v67, s[8:9] offset:256       // 00000000BD38: DD388100 00084352
	s_setvskip 0, 0                                            // 00000000BD40: BF108080
	s_setvskip s20, 2                                          // 00000000BD44: BF108214
	global_atomic_pk_add_f16 v84, v68, s[8:9]                  // 00000000BD48: DD388000 00084454
	s_setvskip 0, 0                                            // 00000000BD50: BF108080
	s_setvskip s20, 2                                          // 00000000BD54: BF108214
	global_atomic_pk_add_f16 v84, v69, s[8:9] offset:256       // 00000000BD58: DD388100 00084554
	s_setvskip 0, 0                                            // 00000000BD60: BF108080
	s_setvskip s20, 3                                          // 00000000BD64: BF108314
	global_atomic_pk_add_f16 v86, v70, s[8:9]                  // 00000000BD68: DD388000 00084656
	s_setvskip 0, 0                                            // 00000000BD70: BF108080
	s_setvskip s20, 3                                          // 00000000BD74: BF108314
	global_atomic_pk_add_f16 v86, v71, s[8:9] offset:256       // 00000000BD78: DD388100 00084756
	s_setvskip 0, 0                                            // 00000000BD80: BF108080
	s_setvskip s20, 4                                          // 00000000BD84: BF108414
	global_atomic_pk_add_f16 v88, v72, s[8:9]                  // 00000000BD88: DD388000 00084858
	s_setvskip 0, 0                                            // 00000000BD90: BF108080
	s_setvskip s20, 4                                          // 00000000BD94: BF108414
	global_atomic_pk_add_f16 v88, v73, s[8:9] offset:256       // 00000000BD98: DD388100 00084958
	s_setvskip 0, 0                                            // 00000000BDA0: BF108080
	s_setvskip s20, 5                                          // 00000000BDA4: BF108514
	global_atomic_pk_add_f16 v90, v74, s[8:9]                  // 00000000BDA8: DD388000 00084A5A
	s_setvskip 0, 0                                            // 00000000BDB0: BF108080
	s_setvskip s20, 5                                          // 00000000BDB4: BF108514
	global_atomic_pk_add_f16 v90, v75, s[8:9] offset:256       // 00000000BDB8: DD388100 00084B5A
	s_setvskip 0, 0                                            // 00000000BDC0: BF108080
	s_setvskip s20, 6                                          // 00000000BDC4: BF108614
	global_atomic_pk_add_f16 v92, v76, s[8:9]                  // 00000000BDC8: DD388000 00084C5C
	s_setvskip 0, 0                                            // 00000000BDD0: BF108080
	s_setvskip s20, 6                                          // 00000000BDD4: BF108614
	global_atomic_pk_add_f16 v92, v77, s[8:9] offset:256       // 00000000BDD8: DD388100 00084D5C
	s_setvskip 0, 0                                            // 00000000BDE0: BF108080
	s_setvskip s20, 7                                          // 00000000BDE4: BF108714
	global_atomic_pk_add_f16 v94, v78, s[8:9]                  // 00000000BDE8: DD388000 00084E5E
	s_setvskip 0, 0                                            // 00000000BDF0: BF108080
	s_setvskip s20, 7                                          // 00000000BDF4: BF108714
	global_atomic_pk_add_f16 v94, v79, s[8:9] offset:256       // 00000000BDF8: DD388100 00084F5E
	s_setvskip 0, 0                                            // 00000000BE00: BF108080
	s_branch label_24D8                                        // 00000000BE04: BF8200D6

000000000000be08 <label_2402>:
	ds_read_b32 v64, v4 offset:18688                           // 00000000BE08: D86C4900 40000004
	ds_read_b32 v65, v4 offset:23040                           // 00000000BE10: D86C5A00 41000004
	ds_read_b32 v66, v4 offset:18720                           // 00000000BE18: D86C4920 42000004
	ds_read_b32 v67, v4 offset:23072                           // 00000000BE20: D86C5A20 43000004
	ds_read_b32 v68, v4 offset:18752                           // 00000000BE28: D86C4940 44000004
	ds_read_b32 v69, v4 offset:23104                           // 00000000BE30: D86C5A40 45000004
	ds_read_b32 v70, v4 offset:18784                           // 00000000BE38: D86C4960 46000004
	ds_read_b32 v71, v4 offset:23136                           // 00000000BE40: D86C5A60 47000004
	ds_read_b32 v72, v4 offset:27392                           // 00000000BE48: D86C6B00 48000004
	ds_read_b32 v73, v4 offset:31744                           // 00000000BE50: D86C7C00 49000004
	ds_read_b32 v74, v4 offset:27424                           // 00000000BE58: D86C6B20 4A000004
	ds_read_b32 v75, v4 offset:31776                           // 00000000BE60: D86C7C20 4B000004
	ds_read_b32 v76, v4 offset:27456                           // 00000000BE68: D86C6B40 4C000004
	ds_read_b32 v77, v4 offset:31808                           // 00000000BE70: D86C7C40 4D000004
	ds_read_b32 v78, v4 offset:27488                           // 00000000BE78: D86C6B60 4E000004
	ds_read_b32 v79, v4 offset:31840                           // 00000000BE80: D86C7C60 4F000004
	s_waitcnt lgkmcnt(0)                                       // 00000000BE88: BF8CC07F
	s_setvskip s20, 0                                          // 00000000BE8C: BF108014
	global_atomic_pk_add_f16 v80, v64, s[8:9]                  // 00000000BE90: DD388000 00084050
	s_setvskip 0, 0                                            // 00000000BE98: BF108080
	s_setvskip s20, 0                                          // 00000000BE9C: BF108014
	global_atomic_pk_add_f16 v80, v65, s[8:9] offset:256       // 00000000BEA0: DD388100 00084150
	s_setvskip 0, 0                                            // 00000000BEA8: BF108080
	s_setvskip s20, 1                                          // 00000000BEAC: BF108114
	global_atomic_pk_add_f16 v82, v66, s[8:9]                  // 00000000BEB0: DD388000 00084252
	s_setvskip 0, 0                                            // 00000000BEB8: BF108080
	s_setvskip s20, 1                                          // 00000000BEBC: BF108114
	global_atomic_pk_add_f16 v82, v67, s[8:9] offset:256       // 00000000BEC0: DD388100 00084352
	s_setvskip 0, 0                                            // 00000000BEC8: BF108080
	s_setvskip s20, 2                                          // 00000000BECC: BF108214
	global_atomic_pk_add_f16 v84, v68, s[8:9]                  // 00000000BED0: DD388000 00084454
	s_setvskip 0, 0                                            // 00000000BED8: BF108080
	s_setvskip s20, 2                                          // 00000000BEDC: BF108214
	global_atomic_pk_add_f16 v84, v69, s[8:9] offset:256       // 00000000BEE0: DD388100 00084554
	s_setvskip 0, 0                                            // 00000000BEE8: BF108080
	s_setvskip s20, 3                                          // 00000000BEEC: BF108314
	global_atomic_pk_add_f16 v86, v70, s[8:9]                  // 00000000BEF0: DD388000 00084656
	s_setvskip 0, 0                                            // 00000000BEF8: BF108080
	s_setvskip s20, 3                                          // 00000000BEFC: BF108314
	global_atomic_pk_add_f16 v86, v71, s[8:9] offset:256       // 00000000BF00: DD388100 00084756
	s_setvskip 0, 0                                            // 00000000BF08: BF108080
	s_setvskip s20, 4                                          // 00000000BF0C: BF108414
	global_atomic_pk_add_f16 v88, v72, s[8:9]                  // 00000000BF10: DD388000 00084858
	s_setvskip 0, 0                                            // 00000000BF18: BF108080
	s_setvskip s20, 4                                          // 00000000BF1C: BF108414
	global_atomic_pk_add_f16 v88, v73, s[8:9] offset:256       // 00000000BF20: DD388100 00084958
	s_setvskip 0, 0                                            // 00000000BF28: BF108080
	s_setvskip s20, 5                                          // 00000000BF2C: BF108514
	global_atomic_pk_add_f16 v90, v74, s[8:9]                  // 00000000BF30: DD388000 00084A5A
	s_setvskip 0, 0                                            // 00000000BF38: BF108080
	s_setvskip s20, 5                                          // 00000000BF3C: BF108514
	global_atomic_pk_add_f16 v90, v75, s[8:9] offset:256       // 00000000BF40: DD388100 00084B5A
	s_setvskip 0, 0                                            // 00000000BF48: BF108080
	s_setvskip s20, 6                                          // 00000000BF4C: BF108614
	global_atomic_pk_add_f16 v92, v76, s[8:9]                  // 00000000BF50: DD388000 00084C5C
	s_setvskip 0, 0                                            // 00000000BF58: BF108080
	s_setvskip s20, 6                                          // 00000000BF5C: BF108614
	global_atomic_pk_add_f16 v92, v77, s[8:9] offset:256       // 00000000BF60: DD388100 00084D5C
	s_setvskip 0, 0                                            // 00000000BF68: BF108080
	s_setvskip s20, 7                                          // 00000000BF6C: BF108714
	global_atomic_pk_add_f16 v94, v78, s[8:9]                  // 00000000BF70: DD388000 00084E5E
	s_setvskip 0, 0                                            // 00000000BF78: BF108080
	s_setvskip s20, 7                                          // 00000000BF7C: BF108714
	global_atomic_pk_add_f16 v94, v79, s[8:9] offset:256       // 00000000BF80: DD388100 00084F5E
	s_setvskip 0, 0                                            // 00000000BF88: BF108080
	s_add_u32 s8, s59, s8                                      // 00000000BF8C: 8008083B
	s_addc_u32 s9, 0, s9                                       // 00000000BF90: 82090980
	ds_write_b64 v3, v[224:225] offset:36096                   // 00000000BF94: D89A8D00 0000E003
	ds_write_b64 v3, v[226:227] offset:44800                   // 00000000BF9C: D89AAF00 0000E203
	ds_write_b64 v3, v[228:229] offset:38272                   // 00000000BFA4: D89A9580 0000E403
	ds_write_b64 v3, v[230:231] offset:46976                   // 00000000BFAC: D89AB780 0000E603
	ds_write_b64 v3, v[232:233] offset:40448                   // 00000000BFB4: D89A9E00 0000E803
	ds_write_b64 v3, v[234:235] offset:49152                   // 00000000BFBC: D89AC000 0000EA03
	ds_write_b64 v3, v[236:237] offset:42624                   // 00000000BFC4: D89AA680 0000EC03
	ds_write_b64 v3, v[238:239] offset:51328                   // 00000000BFCC: D89AC880 0000EE03
	s_waitcnt lgkmcnt(0)                                       // 00000000BFD4: BF8CC07F
	s_barrier                                                  // 00000000BFD8: BF8A0000
	ds_read_b32 v64, v4 offset:36096                           // 00000000BFDC: D86C8D00 40000004
	ds_read_b32 v65, v4 offset:40448                           // 00000000BFE4: D86C9E00 41000004
	ds_read_b32 v66, v4 offset:36128                           // 00000000BFEC: D86C8D20 42000004
	ds_read_b32 v67, v4 offset:40480                           // 00000000BFF4: D86C9E20 43000004
	ds_read_b32 v68, v4 offset:36160                           // 00000000BFFC: D86C8D40 44000004
	ds_read_b32 v69, v4 offset:40512                           // 00000000C004: D86C9E40 45000004
	ds_read_b32 v70, v4 offset:36192                           // 00000000C00C: D86C8D60 46000004
	ds_read_b32 v71, v4 offset:40544                           // 00000000C014: D86C9E60 47000004
	ds_read_b32 v72, v4 offset:44800                           // 00000000C01C: D86CAF00 48000004
	ds_read_b32 v73, v4 offset:49152                           // 00000000C024: D86CC000 49000004
	ds_read_b32 v74, v4 offset:44832                           // 00000000C02C: D86CAF20 4A000004
	ds_read_b32 v75, v4 offset:49184                           // 00000000C034: D86CC020 4B000004
	ds_read_b32 v76, v4 offset:44864                           // 00000000C03C: D86CAF40 4C000004
	ds_read_b32 v77, v4 offset:49216                           // 00000000C044: D86CC040 4D000004
	ds_read_b32 v78, v4 offset:44896                           // 00000000C04C: D86CAF60 4E000004
	ds_read_b32 v79, v4 offset:49248                           // 00000000C054: D86CC060 4F000004
	s_waitcnt lgkmcnt(0)                                       // 00000000C05C: BF8CC07F
	s_setvskip s20, 0                                          // 00000000C060: BF108014
	global_atomic_pk_add_f16 v80, v64, s[8:9]                  // 00000000C064: DD388000 00084050
	s_setvskip 0, 0                                            // 00000000C06C: BF108080
	s_setvskip s20, 0                                          // 00000000C070: BF108014
	global_atomic_pk_add_f16 v80, v65, s[8:9] offset:256       // 00000000C074: DD388100 00084150
	s_setvskip 0, 0                                            // 00000000C07C: BF108080
	s_setvskip s20, 1                                          // 00000000C080: BF108114
	global_atomic_pk_add_f16 v82, v66, s[8:9]                  // 00000000C084: DD388000 00084252
	s_setvskip 0, 0                                            // 00000000C08C: BF108080
	s_setvskip s20, 1                                          // 00000000C090: BF108114
	global_atomic_pk_add_f16 v82, v67, s[8:9] offset:256       // 00000000C094: DD388100 00084352
	s_setvskip 0, 0                                            // 00000000C09C: BF108080
	s_setvskip s20, 2                                          // 00000000C0A0: BF108214
	global_atomic_pk_add_f16 v84, v68, s[8:9]                  // 00000000C0A4: DD388000 00084454
	s_setvskip 0, 0                                            // 00000000C0AC: BF108080
	s_setvskip s20, 2                                          // 00000000C0B0: BF108214
	global_atomic_pk_add_f16 v84, v69, s[8:9] offset:256       // 00000000C0B4: DD388100 00084554
	s_setvskip 0, 0                                            // 00000000C0BC: BF108080
	s_setvskip s20, 3                                          // 00000000C0C0: BF108314
	global_atomic_pk_add_f16 v86, v70, s[8:9]                  // 00000000C0C4: DD388000 00084656
	s_setvskip 0, 0                                            // 00000000C0CC: BF108080
	s_setvskip s20, 3                                          // 00000000C0D0: BF108314
	global_atomic_pk_add_f16 v86, v71, s[8:9] offset:256       // 00000000C0D4: DD388100 00084756
	s_setvskip 0, 0                                            // 00000000C0DC: BF108080
	s_setvskip s20, 4                                          // 00000000C0E0: BF108414
	global_atomic_pk_add_f16 v88, v72, s[8:9]                  // 00000000C0E4: DD388000 00084858
	s_setvskip 0, 0                                            // 00000000C0EC: BF108080
	s_setvskip s20, 4                                          // 00000000C0F0: BF108414
	global_atomic_pk_add_f16 v88, v73, s[8:9] offset:256       // 00000000C0F4: DD388100 00084958
	s_setvskip 0, 0                                            // 00000000C0FC: BF108080
	s_setvskip s20, 5                                          // 00000000C100: BF108514
	global_atomic_pk_add_f16 v90, v74, s[8:9]                  // 00000000C104: DD388000 00084A5A
	s_setvskip 0, 0                                            // 00000000C10C: BF108080
	s_setvskip s20, 5                                          // 00000000C110: BF108514
	global_atomic_pk_add_f16 v90, v75, s[8:9] offset:256       // 00000000C114: DD388100 00084B5A
	s_setvskip 0, 0                                            // 00000000C11C: BF108080
	s_setvskip s20, 6                                          // 00000000C120: BF108614
	global_atomic_pk_add_f16 v92, v76, s[8:9]                  // 00000000C124: DD388000 00084C5C
	s_setvskip 0, 0                                            // 00000000C12C: BF108080
	s_setvskip s20, 6                                          // 00000000C130: BF108614
	global_atomic_pk_add_f16 v92, v77, s[8:9] offset:256       // 00000000C134: DD388100 00084D5C
	s_setvskip 0, 0                                            // 00000000C13C: BF108080
	s_setvskip s20, 7                                          // 00000000C140: BF108714
	global_atomic_pk_add_f16 v94, v78, s[8:9]                  // 00000000C144: DD388000 00084E5E
	s_setvskip 0, 0                                            // 00000000C14C: BF108080
	s_setvskip s20, 7                                          // 00000000C150: BF108714
	global_atomic_pk_add_f16 v94, v79, s[8:9] offset:256       // 00000000C154: DD388100 00084F5E
	s_setvskip 0, 0                                            // 00000000C15C: BF108080

000000000000c160 <label_24D8>:
	s_waitcnt vmcnt(0) expcnt(0) lgkmcnt(0)                    // 00000000C160: BF8C0000
	s_endpgm                                                   // 00000000C164: BF810000
